;; amdgpu-corpus repo=ROCm/aiter kind=harvested arch=n/a opt=n/a

/root/src/amdgpu-assembly/repos/ROCm__aiter/hsa/gfx942/fmoe_2stages/fmoe_stage1_bf16_pertokenFp8_g1u1_64x64_3tg_pf2.co:	file format elf64-amdgpu

Disassembly of section .text:

0000000000002a00 <_ZN5aiter47fmoe_stage1_bf16_pertokenFp8_g1u1_64x64_3tg_pf2E>:
	s_and_b32 s1, s1, 0xffff                                   // 000000002A00: 8601FF01 0000FFFF
	s_load_dwordx2 s[8:9], s[0:1], 0x0                         // 000000002A08: C0060200 00000000
	s_load_dwordx2 s[20:21], s[0:1], 0x10                      // 000000002A10: C0060500 00000010
	s_load_dwordx2 s[24:25], s[0:1], 0x20                      // 000000002A18: C0060600 00000020
	s_load_dwordx2 s[48:49], s[0:1], 0x30                      // 000000002A20: C0060C00 00000030
	s_load_dwordx2 s[28:29], s[0:1], 0x40                      // 000000002A28: C0060700 00000040
	s_load_dwordx2 s[32:33], s[0:1], 0x50                      // 000000002A30: C0060800 00000050
	s_load_dwordx2 s[36:37], s[0:1], 0x60                      // 000000002A38: C0060900 00000060
	s_load_dwordx2 s[12:13], s[0:1], 0x70                      // 000000002A40: C0060300 00000070
	s_load_dwordx2 s[44:45], s[0:1], 0x80                      // 000000002A48: C0060B00 00000080
	s_mov_b32 s89, 0                                           // 000000002A50: BED90080
	s_load_dword s64, s[0:1], 0x90                             // 000000002A54: C0021000 00000090
	s_load_dword s65, s[0:1], 0xa0                             // 000000002A5C: C0021040 000000A0
	s_load_dword s66, s[0:1], 0xb0                             // 000000002A64: C0021080 000000B0
	s_load_dword s67, s[0:1], 0xc0                             // 000000002A6C: C00210C0 000000C0
	s_load_dword s68, s[0:1], 0xd0                             // 000000002A74: C0021100 000000D0
	s_load_dword s69, s[0:1], 0xe0                             // 000000002A7C: C0021140 000000E0
	s_load_dword s71, s[0:1], 0xf0                             // 000000002A84: C00211C0 000000F0
	s_load_dword s72, s[0:1], 0x100                            // 000000002A8C: C0021200 00000100
	s_load_dword s74, s[0:1], 0x110                            // 000000002A94: C0021280 00000110
	s_load_dword s76, s[0:1], 0x120                            // 000000002A9C: C0021300 00000120
	s_load_dword s56, s[0:1], 0x130                            // 000000002AA4: C0020E00 00000130
	s_load_dword s88, s[0:1], 0x140                            // 000000002AAC: C0021600 00000140
	s_load_dword s89, s[0:1], 0x150                            // 000000002AB4: C0021640 00000150
	v_lshrrev_b32_e32 v1, 10, v0                               // 000000002ABC: 2002008A
	v_lshrrev_b32_e32 v2, 10, v1                               // 000000002AC0: 2004028A
	v_and_b32_e32 v2, 0x3ff, v2                                // 000000002AC4: 260404FF 000003FF
	v_and_b32_e32 v1, 0x3ff, v1                                // 000000002ACC: 260202FF 000003FF
	v_and_b32_e32 v0, 0x3ff, v0                                // 000000002AD4: 260000FF 000003FF
	v_lshrrev_b32_e32 v3, 6, v0                                // 000000002ADC: 20060086
	v_and_b32_e32 v0, 63, v0                                   // 000000002AE0: 260000BF
	s_mov_b32 s2, s2                                           // 000000002AE4: BE820002
	s_mov_b32 s3, s3                                           // 000000002AE8: BE830003
	s_mov_b32 s4, s4                                           // 000000002AEC: BE840004
	v_readfirstlane_b32 s7, v3                                 // 000000002AF0: 7E0E0503
	s_waitcnt lgkmcnt(0)                                       // 000000002AF4: BF8CC07F
	s_and_b32 s49, s49, 0xffff                                 // 000000002AF8: 8631FF31 0000FFFF
	s_load_dword s48, s[48:49], 0x0                            // 000000002B00: C0020C18 00000000
	s_and_b32 s45, s45, 0xffff                                 // 000000002B08: 862DFF2D 0000FFFF
	s_and_b32 s9, s9, 0xffff                                   // 000000002B10: 8609FF09 0000FFFF
	s_mul_i32 s60, s66, s68                                    // 000000002B18: 923C4442
	s_mul_i32 s61, s66, 4                                      // 000000002B1C: 923D8442
	s_mov_b32 s22, s60                                         // 000000002B20: BE96003C
	s_mov_b32 s26, -16                                         // 000000002B24: BE9A00D0
	s_mov_b32 s30, s61                                         // 000000002B28: BE9E003D
	s_mov_b32 s14, 0x100                                       // 000000002B2C: BE8E00FF 00000100
	s_mov_b32 s38, -16                                         // 000000002B34: BEA600D0
	s_mov_b32 s10, -16                                         // 000000002B38: BE8A00D0
	s_mov_b32 s34, 0x100                                       // 000000002B3C: BEA200FF 00000100
	s_mov_b32 s23, 0x20000                                     // 000000002B44: BE9700FF 00020000
	s_mov_b32 s27, 0x20000                                     // 000000002B4C: BE9B00FF 00020000
	s_mov_b32 s31, 0x20000                                     // 000000002B54: BE9F00FF 00020000
	s_mov_b32 s35, 0x20000                                     // 000000002B5C: BEA300FF 00020000
	s_mov_b32 s15, 0x20000                                     // 000000002B64: BE8F00FF 00020000
	s_mov_b32 s39, 0x20000                                     // 000000002B6C: BEA700FF 00020000
	s_mov_b32 s11, 0x20000                                     // 000000002B74: BE8B00FF 00020000
	s_and_b32 s21, s21, 0xffff                                 // 000000002B7C: 8615FF15 0000FFFF
	s_and_b32 s25, s25, 0xffff                                 // 000000002B84: 8619FF19 0000FFFF
	s_and_b32 s29, s29, 0xffff                                 // 000000002B8C: 861DFF1D 0000FFFF
	s_and_b32 s33, s33, 0xffff                                 // 000000002B94: 8621FF21 0000FFFF
	s_and_b32 s13, s13, 0xffff                                 // 000000002B9C: 860DFF0D 0000FFFF
	s_and_b32 s37, s37, 0xffff                                 // 000000002BA4: 8625FF25 0000FFFF
	s_or_b32 s21, s21, 0x40000                                 // 000000002BAC: 8715FF15 00040000
	s_or_b32 s25, s25, 0x40000                                 // 000000002BB4: 8719FF19 00040000
	s_or_b32 s29, s29, 0x40000                                 // 000000002BBC: 871DFF1D 00040000
	s_or_b32 s33, s33, 0x40000                                 // 000000002BC4: 8721FF21 00040000
	s_or_b32 s13, s13, 0x40000                                 // 000000002BCC: 870DFF0D 00040000
	s_or_b32 s37, s37, 0x40000                                 // 000000002BD4: 8725FF25 00040000
	v_accvgpr_write_b32 a79, 0                                 // 000000002BDC: D3D9404F 18000080
	v_mov_b32_e32 v87, 0                                       // 000000002BE4: 7EAE0280
	s_waitcnt lgkmcnt(0)                                       // 000000002BE8: BF8CC07F
	s_mul_i32 s60, s3, 64                                      // 000000002BEC: 923CC003
	s_cmp_lt_i32 s60, s48                                      // 000000002BF0: BF04303C
	s_cbranch_scc0 label_1251                                  // 000000002BF4: BF8411D0
	s_mov_b32 s80, 0                                           // 000000002BF8: BED00080
	s_lshr_b32 s81, s64, s88                                   // 000000002BFC: 8F515840
	s_mul_i32 s60, s3, 4                                       // 000000002C00: 923C8403
	s_add_u32 s44, s60, s44                                    // 000000002C04: 802C2C3C
	s_addc_u32 s45, 0, s45                                     // 000000002C08: 822D2D80
	s_load_dword s5, s[44:45], 0x0                             // 000000002C0C: C0020156 00000000
	s_mul_i32 s60, s3, 64                                      // 000000002C14: 923CC003
	s_mul_i32 s60, 4, s60                                      // 000000002C18: 923C3C84
	s_add_u32 s12, s60, s12                                    // 000000002C1C: 800C0C3C
	s_addc_u32 s13, 0, s13                                     // 000000002C20: 820D0D80
	v_and_b32_e32 v4, 15, v0                                   // 000000002C24: 2608008F
	v_lshlrev_b32_e32 v4, 2, v4                                // 000000002C28: 24080882
	buffer_load_dword v28, v4, s[12:15], 0 offen               // 000000002C2C: E0501000 80031C04
	v_add_u32_e32 v4, 64, v4                                   // 000000002C34: 680808C0
	buffer_load_dword v29, v4, s[12:15], 0 offen               // 000000002C38: E0501000 80031D04
	v_add_u32_e32 v4, 64, v4                                   // 000000002C40: 680808C0
	buffer_load_dword v30, v4, s[12:15], 0 offen               // 000000002C44: E0501000 80031E04
	v_add_u32_e32 v4, 64, v4                                   // 000000002C4C: 680808C0
	buffer_load_dword v31, v4, s[12:15], 0 offen               // 000000002C50: E0501000 80031F04
	v_add_u32_e32 v4, 64, v4                                   // 000000002C58: 680808C0
	s_mul_i32 s60, 4, s7                                       // 000000002C5C: 923C0784
	v_lshlrev_b32_e32 v4, 4, v0                                // 000000002C60: 24080084
	v_add_u32_e32 v4, s60, v4                                  // 000000002C64: 6808083C
	buffer_load_dword v3, v4, s[12:15], 0 offen                // 000000002C68: E0501000 80030304
	v_mov_b32_e32 v56, 0                                       // 000000002C70: 7E700280
	v_mov_b32_e32 v72, 0                                       // 000000002C74: 7E900280
	v_mov_b32_e32 v57, 0                                       // 000000002C78: 7E720280
	v_mov_b32_e32 v73, 0                                       // 000000002C7C: 7E920280
	v_mov_b32_e32 v58, 0                                       // 000000002C80: 7E740280
	v_mov_b32_e32 v74, 0                                       // 000000002C84: 7E940280
	v_mov_b32_e32 v59, 0                                       // 000000002C88: 7E760280
	v_mov_b32_e32 v75, 0                                       // 000000002C8C: 7E960280
	v_mov_b32_e32 v60, 0                                       // 000000002C90: 7E780280
	v_mov_b32_e32 v76, 0                                       // 000000002C94: 7E980280
	v_mov_b32_e32 v61, 0                                       // 000000002C98: 7E7A0280
	v_mov_b32_e32 v77, 0                                       // 000000002C9C: 7E9A0280
	v_mov_b32_e32 v62, 0                                       // 000000002CA0: 7E7C0280
	v_mov_b32_e32 v78, 0                                       // 000000002CA4: 7E9C0280
	v_mov_b32_e32 v63, 0                                       // 000000002CA8: 7E7E0280
	v_mov_b32_e32 v79, 0                                       // 000000002CAC: 7E9E0280
	v_mov_b32_e32 v64, 0                                       // 000000002CB0: 7E800280
	v_mov_b32_e32 v80, 0                                       // 000000002CB4: 7EA00280
	v_mov_b32_e32 v65, 0                                       // 000000002CB8: 7E820280
	v_mov_b32_e32 v81, 0                                       // 000000002CBC: 7EA20280
	v_mov_b32_e32 v66, 0                                       // 000000002CC0: 7E840280
	v_mov_b32_e32 v82, 0                                       // 000000002CC4: 7EA40280
	v_mov_b32_e32 v67, 0                                       // 000000002CC8: 7E860280
	v_mov_b32_e32 v83, 0                                       // 000000002CCC: 7EA60280
	v_mov_b32_e32 v68, 0                                       // 000000002CD0: 7E880280
	v_mov_b32_e32 v84, 0                                       // 000000002CD4: 7EA80280
	v_mov_b32_e32 v69, 0                                       // 000000002CD8: 7E8A0280
	v_mov_b32_e32 v85, 0                                       // 000000002CDC: 7EAA0280
	v_mov_b32_e32 v70, 0                                       // 000000002CE0: 7E8C0280
	v_mov_b32_e32 v86, 0                                       // 000000002CE4: 7EAC0280
	v_mov_b32_e32 v71, 0                                       // 000000002CE8: 7E8E0280
	v_mov_b32_e32 v87, 0                                       // 000000002CEC: 7EAE0280
	s_mul_i32 s60, s2, 0x80                                    // 000000002CF0: 923CFF02 00000080
	s_cmp_eq_u32 s88, 0                                        // 000000002CF8: BF068058
	s_cselect_b32 s61, 1, 2                                    // 000000002CFC: 853D8281
	s_mul_i32 s60, s60, s61                                    // 000000002D00: 923C3D3C
	s_mov_b32 s90, s8                                          // 000000002D04: BEDA0008
	s_mov_b32 s91, s9                                          // 000000002D08: BEDB0009
	s_add_u32 s8, s60, s8                                      // 000000002D0C: 8008083C
	s_addc_u32 s9, 0, s9                                       // 000000002D10: 82090980
	v_lshrrev_b32_e32 v4, 4, v0                                // 000000002D14: 20080084
	v_mul_lo_u32 v20, 34, v4                                   // 000000002D18: D2850014 000208A2
	v_and_b32_e32 v4, 15, v0                                   // 000000002D20: 2608008F
	v_mul_lo_u32 v5, 2, v4                                     // 000000002D24: D2850005 00020882
	v_add_u32_e32 v20, v5, v20                                 // 000000002D2C: 68282905
	s_mul_i32 s60, s7, 0x88                                    // 000000002D30: 923CFF07 00000088
	v_add_u32_e32 v20, s60, v20                                // 000000002D38: 6828283C
	v_lshlrev_b32_e32 v20, 2, v20                              // 000000002D3C: 24282882
	v_and_b32_e32 v4, 31, v0                                   // 000000002D40: 2608009F
	v_lshrrev_b32_e32 v4, 1, v4                                // 000000002D44: 20080881
	v_mul_lo_u32 v21, 34, v4                                   // 000000002D48: D2850015 000208A2
	v_lshrrev_b32_e32 v4, 5, v0                                // 000000002D50: 20080085
	v_mul_lo_u32 v4, 8, v4                                     // 000000002D54: D2850004 00020888
	v_add_u32_e32 v21, v21, v4                                 // 000000002D5C: 682A0915
	v_and_b32_e32 v5, 1, v0                                    // 000000002D60: 260A0081
	v_add_u32_e32 v21, v5, v21                                 // 000000002D64: 682A2B05
	s_mul_i32 s60, s7, 2                                       // 000000002D68: 923C8207
	v_add_u32_e32 v21, s60, v21                                // 000000002D6C: 682A2A3C
	v_lshlrev_b32_e32 v21, 2, v21                              // 000000002D70: 242A2A82
	s_mul_i32 s60, s7, 0x820                                   // 000000002D74: 923CFF07 00000820
	s_add_u32 s48, 0, s60                                      // 000000002D7C: 80303C80
	s_add_u32 s49, 0x2080, s48                                 // 000000002D80: 803130FF 00002080
	v_lshrrev_b32_e32 v4, 4, v0                                // 000000002D88: 20080084
	v_lshlrev_b32_e32 v5, 2, v4                                // 000000002D8C: 240A0882
	v_and_b32_e32 v4, 15, v0                                   // 000000002D90: 2608008F
	v_lshrrev_b32_e32 v6, 2, v4                                // 000000002D94: 200C0882
	v_lshlrev_b32_e32 v6, 5, v6                                // 000000002D98: 240C0C85
	v_add_u32_e32 v5, v6, v5                                   // 000000002D9C: 680A0B06
	v_and_b32_e32 v4, 3, v0                                    // 000000002DA0: 26080083
	v_mul_u32_u24_e32 v6, 0x208, v4                            // 000000002DA4: 100C08FF 00000208
	v_add_u32_e32 v5, v6, v5                                   // 000000002DAC: 680A0B06
	v_lshlrev_b32_e32 v2, 2, v5                                // 000000002DB0: 24040A82
	s_waitcnt lgkmcnt(0)                                       // 000000002DB4: BF8CC07F
	s_mul_i32 s60, s2, 64                                      // 000000002DB8: 923CC002
	s_mul_i32 s60, s60, s69                                    // 000000002DBC: 923C453C
	s_mul_i32 s61, s5, s72                                     // 000000002DC0: 923D4805
	s_add_u32 s60, s61, s60                                    // 000000002DC4: 803C3C3D
	s_add_u32 s24, s60, s24                                    // 000000002DC8: 8018183C
	s_addc_u32 s25, 0, s25                                     // 000000002DCC: 82191980
	s_lshr_b32 s60, s64, s88                                   // 000000002DD0: 8F3C5840
	s_mul_i32 s60, s4, s60                                     // 000000002DD4: 923C3C04
	s_lshr_b32 s60, s60, 7                                     // 000000002DD8: 8F3C873C
	s_mul_i32 s60, s60, 0x800                                  // 000000002DDC: 923CFF3C 00000800
	s_add_u32 s24, s60, s24                                    // 000000002DE4: 8018183C
	s_addc_u32 s25, 0, s25                                     // 000000002DE8: 82191980
	s_lshr_b32 s60, s69, s88                                   // 000000002DEC: 8F3C5845
	s_mul_i32 s60, s4, s60                                     // 000000002DF0: 923C3C04
	s_add_u32 s20, s60, s20                                    // 000000002DF4: 8014143C
	s_addc_u32 s21, 0, s21                                     // 000000002DF8: 82151580
	s_mul_i32 s60, s7, 16                                      // 000000002DFC: 923C9007
	s_mul_i32 s60, s60, s69                                    // 000000002E00: 923C453C
	v_lshlrev_b32_e32 v52, 4, v0                               // 000000002E04: 24680084
	v_add_u32_e32 v52, s60, v52                                // 000000002E08: 6868683C
	s_mul_i32 s60, 64, s69                                     // 000000002E0C: 923C45C0
	s_mov_b32 s84, s24                                         // 000000002E10: BED40018
	s_mov_b32 s85, s25                                         // 000000002E14: BED50019
	s_mov_b32 s86, s26                                         // 000000002E18: BED6001A
	s_mov_b32 s87, s27                                         // 000000002E1C: BED7001B
	s_mul_i32 s60, s69, s65                                    // 000000002E20: 923C4145
	s_add_u32 s84, s60, s84                                    // 000000002E24: 8054543C
	s_addc_u32 s85, 0, s85                                     // 000000002E28: 82555580
	v_lshrrev_b32_e32 v4, 4, v0                                // 000000002E2C: 20080084
	v_lshlrev_b32_e32 v5, 2, v4                                // 000000002E30: 240A0882
	v_and_b32_e32 v4, 15, v0                                   // 000000002E34: 2608008F
	v_lshrrev_b32_e32 v6, 2, v4                                // 000000002E38: 200C0882
	v_lshlrev_b32_e32 v6, 6, v6                                // 000000002E3C: 240C0C86
	v_add_u32_e32 v5, v6, v5                                   // 000000002E40: 680A0B06
	v_and_b32_e32 v4, 3, v0                                    // 000000002E44: 26080083
	v_add_u32_e32 v5, v4, v5                                   // 000000002E48: 680A0B04
	v_lshlrev_b32_e32 v22, 2, v5                               // 000000002E4C: 242C0A82
	s_mul_i32 s60, s7, 16                                      // 000000002E50: 923C9007
	s_mul_i32 s60, s60, 4                                      // 000000002E54: 923C843C
	v_add_u32_e32 v22, s60, v22                                // 000000002E58: 682C2C3C
	s_mul_i32 s60, s2, 64                                      // 000000002E5C: 923CC002
	s_mul_i32 s60, s60, 4                                      // 000000002E60: 923C843C
	s_mul_i32 s61, s5, s74                                     // 000000002E64: 923D4A05
	s_add_u32 s61, s61, s60                                    // 000000002E68: 803D3C3D
	s_add_u32 s32, s61, s32                                    // 000000002E6C: 8020203D
	s_addc_u32 s33, 0, s33                                     // 000000002E70: 82212180
	s_mov_b32 s57, 0x80                                        // 000000002E74: BEB900FF 00000080
	s_mov_b32 s58, 0x800                                       // 000000002E7C: BEBA00FF 00000800
	s_mov_b32 s83, s58                                         // 000000002E84: BED3003A
	s_mov_b32 s52, 0x7060302                                   // 000000002E88: BEB400FF 07060302
	s_mov_b32 s53, 0x400                                       // 000000002E90: BEB500FF 00000400
	s_mov_b32 s54, 0x40100                                     // 000000002E98: BEB600FF 00040100
	s_mov_b32 s55, 0x4020100                                   // 000000002EA0: BEB700FF 04020100
	s_mov_b32 s6, 0x3fb8aa3b                                   // 000000002EA8: BE8600FF 3FB8AA3B
	s_mov_b32 s78, 0xbd92220c                                  // 000000002EB0: BECE00FF BD92220C
	s_mov_b32 s79, 0xbd92220c                                  // 000000002EB8: BECF00FF BD92220C
	s_mov_b32 m0, s48                                          // 000000002EC0: BEFC0030
	v_mov_b32_e32 v1, 0xbfcc4231                               // 000000002EC4: 7E0202FF BFCC4231
	v_mov_b32_e32 v17, 0xffff0000                              // 000000002ECC: 7E2202FF FFFF0000
	v_mov_b32_e32 v18, 0x7fff0000                              // 000000002ED4: 7E2402FF 7FFF0000
	v_mov_b32_e32 v19, 0x7fff                                  // 000000002EDC: 7E2602FF 00007FFF
	s_waitcnt vmcnt(0) expcnt(0) lgkmcnt(0)                    // 000000002EE4: BF8C0000
	v_lshrrev_b32_e32 v4, 5, v0                                // 000000002EE8: 20080085
	v_xor_b32_e32 v5, 1, v4                                    // 000000002EEC: 2A0A0881
	v_readlane_b32 s82, v3, 0                                  // 000000002EF0: D2890052 00010103
	s_and_b32 s82, s82, 0xffffff                               // 000000002EF8: 8652FF52 00FFFFFF
	v_mul_lo_u32 v6, v5, s82                                   // 000000002F00: D2850006 0000A505
	v_readlane_b32 s82, v3, 1                                  // 000000002F08: D2890052 00010303
	s_and_b32 s82, s82, 0xffffff                               // 000000002F10: 8652FF52 00FFFFFF
	v_mul_lo_u32 v7, v4, s82                                   // 000000002F18: D2850007 0000A504
	v_add_u32_e32 v44, v6, v7                                  // 000000002F20: 68580F06
	v_mul_lo_u32 v44, v44, s68                                 // 000000002F24: D285002C 0000892C
	v_readlane_b32 s82, v3, 2                                  // 000000002F2C: D2890052 00010503
	s_and_b32 s82, s82, 0xffffff                               // 000000002F34: 8652FF52 00FFFFFF
	v_mul_lo_u32 v6, v5, s82                                   // 000000002F3C: D2850006 0000A505
	v_readlane_b32 s82, v3, 3                                  // 000000002F44: D2890052 00010703
	s_and_b32 s82, s82, 0xffffff                               // 000000002F4C: 8652FF52 00FFFFFF
	v_mul_lo_u32 v7, v4, s82                                   // 000000002F54: D2850007 0000A504
	v_add_u32_e32 v45, v6, v7                                  // 000000002F5C: 685A0F06
	v_mul_lo_u32 v45, v45, s68                                 // 000000002F60: D285002D 0000892D
	v_readlane_b32 s82, v3, 4                                  // 000000002F68: D2890052 00010903
	s_and_b32 s82, s82, 0xffffff                               // 000000002F70: 8652FF52 00FFFFFF
	v_mul_lo_u32 v6, v5, s82                                   // 000000002F78: D2850006 0000A505
	v_readlane_b32 s82, v3, 5                                  // 000000002F80: D2890052 00010B03
	s_and_b32 s82, s82, 0xffffff                               // 000000002F88: 8652FF52 00FFFFFF
	v_mul_lo_u32 v7, v4, s82                                   // 000000002F90: D2850007 0000A504
	v_add_u32_e32 v46, v6, v7                                  // 000000002F98: 685C0F06
	v_mul_lo_u32 v46, v46, s68                                 // 000000002F9C: D285002E 0000892E
	v_readlane_b32 s82, v3, 6                                  // 000000002FA4: D2890052 00010D03
	s_and_b32 s82, s82, 0xffffff                               // 000000002FAC: 8652FF52 00FFFFFF
	v_mul_lo_u32 v6, v5, s82                                   // 000000002FB4: D2850006 0000A505
	v_readlane_b32 s82, v3, 7                                  // 000000002FBC: D2890052 00010F03
	s_and_b32 s82, s82, 0xffffff                               // 000000002FC4: 8652FF52 00FFFFFF
	v_mul_lo_u32 v7, v4, s82                                   // 000000002FCC: D2850007 0000A504
	v_add_u32_e32 v47, v6, v7                                  // 000000002FD4: 685E0F06
	v_mul_lo_u32 v47, v47, s68                                 // 000000002FD8: D285002F 0000892F
	v_readlane_b32 s82, v3, 8                                  // 000000002FE0: D2890052 00011103
	s_and_b32 s82, s82, 0xffffff                               // 000000002FE8: 8652FF52 00FFFFFF
	v_mul_lo_u32 v6, v5, s82                                   // 000000002FF0: D2850006 0000A505
	v_readlane_b32 s82, v3, 9                                  // 000000002FF8: D2890052 00011303
	s_and_b32 s82, s82, 0xffffff                               // 000000003000: 8652FF52 00FFFFFF
	v_mul_lo_u32 v7, v4, s82                                   // 000000003008: D2850007 0000A504
	v_add_u32_e32 v48, v6, v7                                  // 000000003010: 68600F06
	v_mul_lo_u32 v48, v48, s68                                 // 000000003014: D2850030 00008930
	v_readlane_b32 s82, v3, 10                                 // 00000000301C: D2890052 00011503
	s_and_b32 s82, s82, 0xffffff                               // 000000003024: 8652FF52 00FFFFFF
	v_mul_lo_u32 v6, v5, s82                                   // 00000000302C: D2850006 0000A505
	v_readlane_b32 s82, v3, 11                                 // 000000003034: D2890052 00011703
	s_and_b32 s82, s82, 0xffffff                               // 00000000303C: 8652FF52 00FFFFFF
	v_mul_lo_u32 v7, v4, s82                                   // 000000003044: D2850007 0000A504
	v_add_u32_e32 v49, v6, v7                                  // 00000000304C: 68620F06
	v_mul_lo_u32 v49, v49, s68                                 // 000000003050: D2850031 00008931
	v_readlane_b32 s82, v3, 12                                 // 000000003058: D2890052 00011903
	s_and_b32 s82, s82, 0xffffff                               // 000000003060: 8652FF52 00FFFFFF
	v_mul_lo_u32 v6, v5, s82                                   // 000000003068: D2850006 0000A505
	v_readlane_b32 s82, v3, 13                                 // 000000003070: D2890052 00011B03
	s_and_b32 s82, s82, 0xffffff                               // 000000003078: 8652FF52 00FFFFFF
	v_mul_lo_u32 v7, v4, s82                                   // 000000003080: D2850007 0000A504
	v_add_u32_e32 v50, v6, v7                                  // 000000003088: 68640F06
	v_mul_lo_u32 v50, v50, s68                                 // 00000000308C: D2850032 00008932
	v_readlane_b32 s82, v3, 14                                 // 000000003094: D2890052 00011D03
	s_and_b32 s82, s82, 0xffffff                               // 00000000309C: 8652FF52 00FFFFFF
	v_mul_lo_u32 v6, v5, s82                                   // 0000000030A4: D2850006 0000A505
	v_readlane_b32 s82, v3, 15                                 // 0000000030AC: D2890052 00011F03
	s_and_b32 s82, s82, 0xffffff                               // 0000000030B4: 8652FF52 00FFFFFF
	v_mul_lo_u32 v7, v4, s82                                   // 0000000030BC: D2850007 0000A504
	v_add_u32_e32 v51, v6, v7                                  // 0000000030C4: 68660F06
	v_mul_lo_u32 v51, v51, s68                                 // 0000000030C8: D2850033 00008933
	v_and_b32_e32 v4, 31, v0                                   // 0000000030D0: 2608009F
	v_lshlrev_b32_e32 v4, 2, v4                                // 0000000030D4: 24080882
	v_add_u32_e32 v44, v44, v4                                 // 0000000030D8: 6858092C
	v_add_u32_e32 v45, v45, v4                                 // 0000000030DC: 685A092D
	v_add_u32_e32 v46, v46, v4                                 // 0000000030E0: 685C092E
	v_add_u32_e32 v47, v47, v4                                 // 0000000030E4: 685E092F
	v_add_u32_e32 v48, v48, v4                                 // 0000000030E8: 68600930
	v_add_u32_e32 v49, v49, v4                                 // 0000000030EC: 68620931
	v_add_u32_e32 v50, v50, v4                                 // 0000000030F0: 68640932
	v_add_u32_e32 v51, v51, v4                                 // 0000000030F4: 68660933
	v_and_b32_e32 v28, 0xffffff, v28                           // 0000000030F8: 263838FF 00FFFFFF
	v_lshlrev_b32_e32 v28, 2, v28                              // 000000003100: 24383882
	v_and_b32_e32 v29, 0xffffff, v29                           // 000000003104: 263A3AFF 00FFFFFF
	v_lshlrev_b32_e32 v29, 2, v29                              // 00000000310C: 243A3A82
	v_and_b32_e32 v30, 0xffffff, v30                           // 000000003110: 263C3CFF 00FFFFFF
	v_lshlrev_b32_e32 v30, 2, v30                              // 000000003118: 243C3C82
	v_and_b32_e32 v31, 0xffffff, v31                           // 00000000311C: 263E3EFF 00FFFFFF
	v_lshlrev_b32_e32 v31, 2, v31                              // 000000003124: 243E3E82
	s_lshl_b32 s3, s66, 2                                      // 000000003128: 8E038242
	buffer_load_dword v32, v28, s[28:31], 0 offen              // 00000000312C: E0501000 8007201C
	buffer_load_dword v33, v29, s[28:31], 0 offen              // 000000003134: E0501000 8007211D
	buffer_load_dword v34, v30, s[28:31], 0 offen              // 00000000313C: E0501000 8007221E
	buffer_load_dword v35, v31, s[28:31], 0 offen              // 000000003144: E0501000 8007231F
	buffer_load_dword v24, v22, s[32:35], 0 offen              // 00000000314C: E0501000 80081816
	s_mul_i32 s60, 4, s65                                      // 000000003154: 923C4184
	s_add_u32 s32, s60, s32                                    // 000000003158: 8020203C
	s_addc_u32 s33, 0, s33                                     // 00000000315C: 82212180
	buffer_load_dword v26, v22, s[32:35], 0 offen              // 000000003160: E0501000 80081A16
	buffer_load_dword v44, s[20:23], 0 offen lds               // 000000003168: E0511000 8005002C
	s_add_u32 m0, 0x100, s48                                   // 000000003170: 807C30FF 00000100
	buffer_load_dword v45, s[20:23], 0 offen lds               // 000000003178: E0511000 8005002D
	s_add_u32 m0, 0x200, s48                                   // 000000003180: 807C30FF 00000200
	buffer_load_dword v46, s[20:23], 0 offen lds               // 000000003188: E0511000 8005002E
	s_add_u32 m0, 0x300, s48                                   // 000000003190: 807C30FF 00000300
	buffer_load_dword v47, s[20:23], 0 offen lds               // 000000003198: E0511000 8005002F
	s_add_u32 m0, 0x400, s48                                   // 0000000031A0: 807C30FF 00000400
	buffer_load_dword v48, s[20:23], 0 offen lds               // 0000000031A8: E0511000 80050030
	s_add_u32 m0, 0x500, s48                                   // 0000000031B0: 807C30FF 00000500
	buffer_load_dword v49, s[20:23], 0 offen lds               // 0000000031B8: E0511000 80050031
	s_add_u32 m0, 0x600, s48                                   // 0000000031C0: 807C30FF 00000600
	buffer_load_dword v50, s[20:23], 0 offen lds               // 0000000031C8: E0511000 80050032
	s_add_u32 m0, 0x700, s48                                   // 0000000031D0: 807C30FF 00000700
	buffer_load_dword v51, s[20:23], 0 offen lds               // 0000000031D8: E0511000 80050033
	s_add_u32 m0, 0, s49                                       // 0000000031E0: 807C3180
	s_add_u32 s20, s57, s20                                    // 0000000031E4: 80141439
	s_addc_u32 s21, 0, s21                                     // 0000000031E8: 82151580
	buffer_load_dword v44, s[20:23], 0 offen lds               // 0000000031EC: E0511000 8005002C
	s_add_u32 m0, 0x100, s49                                   // 0000000031F4: 807C31FF 00000100
	buffer_load_dword v45, s[20:23], 0 offen lds               // 0000000031FC: E0511000 8005002D
	s_add_u32 m0, 0x200, s49                                   // 000000003204: 807C31FF 00000200
	buffer_load_dword v46, s[20:23], 0 offen lds               // 00000000320C: E0511000 8005002E
	s_add_u32 m0, 0x300, s49                                   // 000000003214: 807C31FF 00000300
	buffer_load_dword v47, s[20:23], 0 offen lds               // 00000000321C: E0511000 8005002F
	s_add_u32 m0, 0x400, s49                                   // 000000003224: 807C31FF 00000400
	buffer_load_dword v48, s[20:23], 0 offen lds               // 00000000322C: E0511000 80050030
	s_add_u32 m0, 0x500, s49                                   // 000000003234: 807C31FF 00000500
	buffer_load_dword v49, s[20:23], 0 offen lds               // 00000000323C: E0511000 80050031
	s_add_u32 m0, 0x600, s49                                   // 000000003244: 807C31FF 00000600
	buffer_load_dword v50, s[20:23], 0 offen lds               // 00000000324C: E0511000 80050032
	s_add_u32 m0, 0x700, s49                                   // 000000003254: 807C31FF 00000700
	buffer_load_dword v51, s[20:23], 0 offen lds               // 00000000325C: E0511000 80050033
	s_add_u32 m0, 0, s48                                       // 000000003264: 807C3080
	s_add_u32 s20, s57, s20                                    // 000000003268: 80141439
	s_addc_u32 s21, 0, s21                                     // 00000000326C: 82151580
	buffer_load_dwordx4 a[64:67], v52, s[24:27], 0 offen       // 000000003270: E05C1000 80864034
	buffer_load_dwordx4 a[68:71], v52, s[24:27], 0 offen offset:1024// 000000003278: E05C1400 80864434
	s_add_u32 s24, s58, s24                                    // 000000003280: 8018183A
	s_addc_u32 s25, 0, s25                                     // 000000003284: 82191980
	s_waitcnt vmcnt(10)                                        // 000000003288: BF8C0F7A
	s_barrier                                                  // 00000000328C: BF8A0000
	ds_read_b128 a[0:3], v2                                    // 000000003290: DBFE0000 00000002
	ds_read_b128 a[4:7], v2 offset:64                          // 000000003298: DBFE0040 04000002
	ds_read_b128 a[8:11], v2 offset:512                        // 0000000032A0: DBFE0200 08000002
	ds_read_b128 a[12:15], v2 offset:576                       // 0000000032A8: DBFE0240 0C000002
	ds_read_b128 a[16:19], v2 offset:1024                      // 0000000032B0: DBFE0400 10000002
	ds_read_b128 a[20:23], v2 offset:1088                      // 0000000032B8: DBFE0440 14000002
	ds_read_b128 a[24:27], v2 offset:1536                      // 0000000032C0: DBFE0600 18000002
	ds_read_b128 a[28:31], v2 offset:1600                      // 0000000032C8: DBFE0640 1C000002
	s_cmp_lt_i32 s7, 2                                         // 0000000032D0: BF048207
	s_cbranch_scc0 label_0A45                                  // 0000000032D4: BF84080C

00000000000032d8 <label_0236>:
	s_waitcnt vmcnt(0) lgkmcnt(0)                              // 0000000032D8: BF8C0070
	s_barrier                                                  // 0000000032DC: BF8A0000
	v_mfma_f32_16x16x32_fp8_fp8 v[56:59], a[64:65], a[0:1], v[56:59]// 0000000032E0: D3F30038 1CE20140
	v_mfma_f32_16x16x32_fp8_fp8 v[56:59], a[66:67], a[2:3], v[56:59]// 0000000032E8: D3F30038 1CE20542
	buffer_load_dwordx4 a[72:75], v52, s[84:87], 0 offen       // 0000000032F0: E05C1000 80954834
	v_mfma_f32_16x16x32_fp8_fp8 v[56:59], a[68:69], a[4:5], v[56:59]// 0000000032F8: D3F30038 1CE20944
	v_mfma_f32_16x16x32_fp8_fp8 v[56:59], a[70:71], a[6:7], v[56:59]// 000000003300: D3F30038 1CE20D46
	v_mfma_f32_16x16x32_fp8_fp8 v[60:63], a[64:65], a[8:9], v[60:63]// 000000003308: D3F3003C 1CF21140
	v_mfma_f32_16x16x32_fp8_fp8 v[60:63], a[66:67], a[10:11], v[60:63]// 000000003310: D3F3003C 1CF21542
	buffer_load_dwordx4 a[76:79], v52, s[84:87], 0 offen offset:1024// 000000003318: E05C1400 80954C34
	buffer_load_dword v44, s[20:23], 0 offen lds               // 000000003320: E0511000 8005002C
	s_add_u32 m0, 0x100, s48                                   // 000000003328: 807C30FF 00000100
	v_mfma_f32_16x16x32_fp8_fp8 v[60:63], a[68:69], a[12:13], v[60:63]// 000000003330: D3F3003C 1CF21944
	v_mfma_f32_16x16x32_fp8_fp8 v[60:63], a[70:71], a[14:15], v[60:63]// 000000003338: D3F3003C 1CF21D46
	buffer_load_dword v45, s[20:23], 0 offen lds               // 000000003340: E0511000 8005002D
	s_add_u32 m0, 0x200, s48                                   // 000000003348: 807C30FF 00000200
	v_mfma_f32_16x16x32_fp8_fp8 v[64:67], a[64:65], a[16:17], v[64:67]// 000000003350: D3F30040 1D022140
	v_mfma_f32_16x16x32_fp8_fp8 v[64:67], a[66:67], a[18:19], v[64:67]// 000000003358: D3F30040 1D022542
	buffer_load_dword v46, s[20:23], 0 offen lds               // 000000003360: E0511000 8005002E
	s_add_u32 m0, 0x300, s48                                   // 000000003368: 807C30FF 00000300
	v_mfma_f32_16x16x32_fp8_fp8 v[64:67], a[68:69], a[20:21], v[64:67]// 000000003370: D3F30040 1D022944
	v_mfma_f32_16x16x32_fp8_fp8 v[64:67], a[70:71], a[22:23], v[64:67]// 000000003378: D3F30040 1D022D46
	buffer_load_dword v47, s[20:23], 0 offen lds               // 000000003380: E0511000 8005002F
	s_add_u32 m0, 0x400, s48                                   // 000000003388: 807C30FF 00000400
	v_mfma_f32_16x16x32_fp8_fp8 v[68:71], a[64:65], a[24:25], v[68:71]// 000000003390: D3F30044 1D123140
	v_mfma_f32_16x16x32_fp8_fp8 v[68:71], a[66:67], a[26:27], v[68:71]// 000000003398: D3F30044 1D123542
	buffer_load_dword v48, s[20:23], 0 offen lds               // 0000000033A0: E0511000 80050030
	s_add_u32 m0, 0x500, s48                                   // 0000000033A8: 807C30FF 00000500
	s_add_u32 s60, 0x80, s80                                   // 0000000033B0: 803C50FF 00000080
	s_cmp_lt_u32 s60, s81                                      // 0000000033B8: BF0A513C
	s_cselect_b32 s83, s83, 0                                  // 0000000033BC: 85538053
	v_mfma_f32_16x16x32_fp8_fp8 v[68:71], a[68:69], a[28:29], v[68:71]// 0000000033C0: D3F30044 1D123944
	v_mfma_f32_16x16x32_fp8_fp8 v[68:71], a[70:71], a[30:31], v[68:71]// 0000000033C8: D3F30044 1D123D46
	buffer_load_dword v49, s[20:23], 0 offen lds               // 0000000033D0: E0511000 80050031
	s_add_u32 m0, 0x600, s48                                   // 0000000033D8: 807C30FF 00000600
	buffer_load_dword v50, s[20:23], 0 offen lds               // 0000000033E0: E0511000 80050032
	s_add_u32 m0, 0x700, s48                                   // 0000000033E8: 807C30FF 00000700
	buffer_load_dword v51, s[20:23], 0 offen lds               // 0000000033F0: E0511000 80050033
	s_add_u32 m0, 0, s49                                       // 0000000033F8: 807C3180
	s_waitcnt vmcnt(8)                                         // 0000000033FC: BF8C0F78
	v_mfma_f32_16x16x32_fp8_fp8 v[72:75], a[72:73], a[0:1], v[72:75]// 000000003400: D3F30048 1D220148
	v_mfma_f32_16x16x32_fp8_fp8 v[72:75], a[74:75], a[2:3], v[72:75]// 000000003408: D3F30048 1D22054A
	buffer_load_dwordx4 a[64:67], v52, s[24:27], 0 offen       // 000000003410: E05C1000 80864034
	v_mfma_f32_16x16x32_fp8_fp8 v[72:75], a[76:77], a[4:5], v[72:75]// 000000003418: D3F30048 1D22094C
	v_mfma_f32_16x16x32_fp8_fp8 v[72:75], a[78:79], a[6:7], v[72:75]// 000000003420: D3F30048 1D220D4E
	ds_read_b128 a[32:35], v2 offset:8320                      // 000000003428: DBFE2080 20000002
	ds_read_b128 a[36:39], v2 offset:8384                      // 000000003430: DBFE20C0 24000002
	v_mfma_f32_16x16x32_fp8_fp8 v[76:79], a[72:73], a[8:9], v[76:79]// 000000003438: D3F3004C 1D321148
	v_mfma_f32_16x16x32_fp8_fp8 v[76:79], a[74:75], a[10:11], v[76:79]// 000000003440: D3F3004C 1D32154A
	buffer_load_dwordx4 a[68:71], v52, s[24:27], 0 offen offset:1024// 000000003448: E05C1400 80864434
	v_mfma_f32_16x16x32_fp8_fp8 v[76:79], a[76:77], a[12:13], v[76:79]// 000000003450: D3F3004C 1D32194C
	v_mfma_f32_16x16x32_fp8_fp8 v[76:79], a[78:79], a[14:15], v[76:79]// 000000003458: D3F3004C 1D321D4E
	ds_read_b128 a[40:43], v2 offset:8832                      // 000000003460: DBFE2280 28000002
	ds_read_b128 a[44:47], v2 offset:8896                      // 000000003468: DBFE22C0 2C000002
	v_mfma_f32_16x16x32_fp8_fp8 v[80:83], a[72:73], a[16:17], v[80:83]// 000000003470: D3F30050 1D422148
	v_mfma_f32_16x16x32_fp8_fp8 v[80:83], a[74:75], a[18:19], v[80:83]// 000000003478: D3F30050 1D42254A
	v_mfma_f32_16x16x32_fp8_fp8 v[80:83], a[76:77], a[20:21], v[80:83]// 000000003480: D3F30050 1D42294C
	s_add_u32 s60, 0x180, s80                                  // 000000003488: 803C50FF 00000180
	s_cmp_lt_u32 s60, s81                                      // 000000003490: BF0A513C
	s_cselect_b32 s57, s57, 0                                  // 000000003494: 85398039
	v_mfma_f32_16x16x32_fp8_fp8 v[80:83], a[78:79], a[22:23], v[80:83]// 000000003498: D3F30050 1D422D4E
	ds_read_b128 a[48:51], v2 offset:9344                      // 0000000034A0: DBFE2480 30000002
	ds_read_b128 a[52:55], v2 offset:9408                      // 0000000034A8: DBFE24C0 34000002
	s_add_u32 s60, 0x100, s80                                  // 0000000034B0: 803C50FF 00000100
	s_cmp_lt_u32 s60, s81                                      // 0000000034B8: BF0A513C
	s_cselect_b32 s58, s58, 0                                  // 0000000034BC: 853A803A
	v_mfma_f32_16x16x32_fp8_fp8 v[84:87], a[72:73], a[24:25], v[84:87]// 0000000034C0: D3F30054 1D523148
	s_add_u32 s24, s58, s24                                    // 0000000034C8: 8018183A
	s_addc_u32 s25, 0, s25                                     // 0000000034CC: 82191980
	v_mfma_f32_16x16x32_fp8_fp8 v[84:87], a[74:75], a[26:27], v[84:87]// 0000000034D0: D3F30054 1D52354A
	s_add_u32 s20, s57, s20                                    // 0000000034D8: 80141439
	s_addc_u32 s21, 0, s21                                     // 0000000034DC: 82151580
	v_mfma_f32_16x16x32_fp8_fp8 v[84:87], a[76:77], a[28:29], v[84:87]// 0000000034E0: D3F30054 1D52394C
	s_add_u32 s84, s83, s84                                    // 0000000034E8: 80545453
	s_addc_u32 s85, 0, s85                                     // 0000000034EC: 82555580
	v_mfma_f32_16x16x32_fp8_fp8 v[84:87], a[78:79], a[30:31], v[84:87]// 0000000034F0: D3F30054 1D523D4E
	ds_read_b128 a[56:59], v2 offset:9856                      // 0000000034F8: DBFE2680 38000002
	ds_read_b128 a[60:63], v2 offset:9920                      // 000000003500: DBFE26C0 3C000002
	s_addk_i32 s80, 0x80                                       // 000000003508: B7500080
	s_cmp_lt_i32 s80, s81                                      // 00000000350C: BF045150
	s_cbranch_scc0 label_0355                                  // 000000003510: BF840090
	s_waitcnt vmcnt(0) lgkmcnt(0)                              // 000000003514: BF8C0070
	s_barrier                                                  // 000000003518: BF8A0000
	v_mfma_f32_16x16x32_fp8_fp8 v[56:59], a[64:65], a[32:33], v[56:59]// 00000000351C: D3F30038 1CE24140
	v_mfma_f32_16x16x32_fp8_fp8 v[56:59], a[66:67], a[34:35], v[56:59]// 000000003524: D3F30038 1CE24542
	buffer_load_dwordx4 a[72:75], v52, s[84:87], 0 offen       // 00000000352C: E05C1000 80954834
	v_mfma_f32_16x16x32_fp8_fp8 v[56:59], a[68:69], a[36:37], v[56:59]// 000000003534: D3F30038 1CE24944
	v_mfma_f32_16x16x32_fp8_fp8 v[56:59], a[70:71], a[38:39], v[56:59]// 00000000353C: D3F30038 1CE24D46
	v_mfma_f32_16x16x32_fp8_fp8 v[60:63], a[64:65], a[40:41], v[60:63]// 000000003544: D3F3003C 1CF25140
	v_mfma_f32_16x16x32_fp8_fp8 v[60:63], a[66:67], a[42:43], v[60:63]// 00000000354C: D3F3003C 1CF25542
	buffer_load_dwordx4 a[76:79], v52, s[84:87], 0 offen offset:1024// 000000003554: E05C1400 80954C34
	buffer_load_dword v44, s[20:23], 0 offen lds               // 00000000355C: E0511000 8005002C
	s_add_u32 m0, 0x100, s49                                   // 000000003564: 807C31FF 00000100
	v_mfma_f32_16x16x32_fp8_fp8 v[60:63], a[68:69], a[44:45], v[60:63]// 00000000356C: D3F3003C 1CF25944
	v_mfma_f32_16x16x32_fp8_fp8 v[60:63], a[70:71], a[46:47], v[60:63]// 000000003574: D3F3003C 1CF25D46
	buffer_load_dword v45, s[20:23], 0 offen lds               // 00000000357C: E0511000 8005002D
	s_add_u32 m0, 0x200, s49                                   // 000000003584: 807C31FF 00000200
	v_mfma_f32_16x16x32_fp8_fp8 v[64:67], a[64:65], a[48:49], v[64:67]// 00000000358C: D3F30040 1D026140
	v_mfma_f32_16x16x32_fp8_fp8 v[64:67], a[66:67], a[50:51], v[64:67]// 000000003594: D3F30040 1D026542
	buffer_load_dword v46, s[20:23], 0 offen lds               // 00000000359C: E0511000 8005002E
	s_add_u32 m0, 0x300, s49                                   // 0000000035A4: 807C31FF 00000300
	v_mfma_f32_16x16x32_fp8_fp8 v[64:67], a[68:69], a[52:53], v[64:67]// 0000000035AC: D3F30040 1D026944
	v_mfma_f32_16x16x32_fp8_fp8 v[64:67], a[70:71], a[54:55], v[64:67]// 0000000035B4: D3F30040 1D026D46
	buffer_load_dword v47, s[20:23], 0 offen lds               // 0000000035BC: E0511000 8005002F
	s_add_u32 m0, 0x400, s49                                   // 0000000035C4: 807C31FF 00000400
	v_mfma_f32_16x16x32_fp8_fp8 v[68:71], a[64:65], a[56:57], v[68:71]// 0000000035CC: D3F30044 1D127140
	v_mfma_f32_16x16x32_fp8_fp8 v[68:71], a[66:67], a[58:59], v[68:71]// 0000000035D4: D3F30044 1D127542
	buffer_load_dword v48, s[20:23], 0 offen lds               // 0000000035DC: E0511000 80050030
	s_add_u32 m0, 0x500, s49                                   // 0000000035E4: 807C31FF 00000500
	s_add_u32 s60, 0x80, s80                                   // 0000000035EC: 803C50FF 00000080
	s_cmp_lt_u32 s60, s81                                      // 0000000035F4: BF0A513C
	s_cselect_b32 s83, s83, 0                                  // 0000000035F8: 85538053
	v_mfma_f32_16x16x32_fp8_fp8 v[68:71], a[68:69], a[60:61], v[68:71]// 0000000035FC: D3F30044 1D127944
	v_mfma_f32_16x16x32_fp8_fp8 v[68:71], a[70:71], a[62:63], v[68:71]// 000000003604: D3F30044 1D127D46
	buffer_load_dword v49, s[20:23], 0 offen lds               // 00000000360C: E0511000 80050031
	s_add_u32 m0, 0x600, s49                                   // 000000003614: 807C31FF 00000600
	buffer_load_dword v50, s[20:23], 0 offen lds               // 00000000361C: E0511000 80050032
	s_add_u32 m0, 0x700, s49                                   // 000000003624: 807C31FF 00000700
	buffer_load_dword v51, s[20:23], 0 offen lds               // 00000000362C: E0511000 80050033
	s_add_u32 m0, 0, s48                                       // 000000003634: 807C3080
	s_waitcnt vmcnt(8)                                         // 000000003638: BF8C0F78
	v_mfma_f32_16x16x32_fp8_fp8 v[72:75], a[72:73], a[32:33], v[72:75]// 00000000363C: D3F30048 1D224148
	v_mfma_f32_16x16x32_fp8_fp8 v[72:75], a[74:75], a[34:35], v[72:75]// 000000003644: D3F30048 1D22454A
	buffer_load_dwordx4 a[64:67], v52, s[24:27], 0 offen       // 00000000364C: E05C1000 80864034
	v_mfma_f32_16x16x32_fp8_fp8 v[72:75], a[76:77], a[36:37], v[72:75]// 000000003654: D3F30048 1D22494C
	v_mfma_f32_16x16x32_fp8_fp8 v[72:75], a[78:79], a[38:39], v[72:75]// 00000000365C: D3F30048 1D224D4E
	ds_read_b128 a[0:3], v2                                    // 000000003664: DBFE0000 00000002
	ds_read_b128 a[4:7], v2 offset:64                          // 00000000366C: DBFE0040 04000002
	v_mfma_f32_16x16x32_fp8_fp8 v[76:79], a[72:73], a[40:41], v[76:79]// 000000003674: D3F3004C 1D325148
	v_mfma_f32_16x16x32_fp8_fp8 v[76:79], a[74:75], a[42:43], v[76:79]// 00000000367C: D3F3004C 1D32554A
	buffer_load_dwordx4 a[68:71], v52, s[24:27], 0 offen offset:1024// 000000003684: E05C1400 80864434
	v_mfma_f32_16x16x32_fp8_fp8 v[76:79], a[76:77], a[44:45], v[76:79]// 00000000368C: D3F3004C 1D32594C
	v_mfma_f32_16x16x32_fp8_fp8 v[76:79], a[78:79], a[46:47], v[76:79]// 000000003694: D3F3004C 1D325D4E
	ds_read_b128 a[8:11], v2 offset:512                        // 00000000369C: DBFE0200 08000002
	ds_read_b128 a[12:15], v2 offset:576                       // 0000000036A4: DBFE0240 0C000002
	v_mfma_f32_16x16x32_fp8_fp8 v[80:83], a[72:73], a[48:49], v[80:83]// 0000000036AC: D3F30050 1D426148
	v_mfma_f32_16x16x32_fp8_fp8 v[80:83], a[74:75], a[50:51], v[80:83]// 0000000036B4: D3F30050 1D42654A
	v_mfma_f32_16x16x32_fp8_fp8 v[80:83], a[76:77], a[52:53], v[80:83]// 0000000036BC: D3F30050 1D42694C
	s_add_u32 s60, 0x180, s80                                  // 0000000036C4: 803C50FF 00000180
	s_cmp_lt_u32 s60, s81                                      // 0000000036CC: BF0A513C
	s_cselect_b32 s57, s57, 0                                  // 0000000036D0: 85398039
	v_mfma_f32_16x16x32_fp8_fp8 v[80:83], a[78:79], a[54:55], v[80:83]// 0000000036D4: D3F30050 1D426D4E
	ds_read_b128 a[16:19], v2 offset:1024                      // 0000000036DC: DBFE0400 10000002
	ds_read_b128 a[20:23], v2 offset:1088                      // 0000000036E4: DBFE0440 14000002
	s_add_u32 s60, 0x100, s80                                  // 0000000036EC: 803C50FF 00000100
	s_cmp_lt_u32 s60, s81                                      // 0000000036F4: BF0A513C
	s_cselect_b32 s58, s58, 0                                  // 0000000036F8: 853A803A
	v_mfma_f32_16x16x32_fp8_fp8 v[84:87], a[72:73], a[56:57], v[84:87]// 0000000036FC: D3F30054 1D527148
	s_add_u32 s24, s58, s24                                    // 000000003704: 8018183A
	s_addc_u32 s25, 0, s25                                     // 000000003708: 82191980
	v_mfma_f32_16x16x32_fp8_fp8 v[84:87], a[74:75], a[58:59], v[84:87]// 00000000370C: D3F30054 1D52754A
	s_add_u32 s20, s57, s20                                    // 000000003714: 80141439
	s_addc_u32 s21, 0, s21                                     // 000000003718: 82151580
	v_mfma_f32_16x16x32_fp8_fp8 v[84:87], a[76:77], a[60:61], v[84:87]// 00000000371C: D3F30054 1D52794C
	s_add_u32 s84, s83, s84                                    // 000000003724: 80545453
	s_addc_u32 s85, 0, s85                                     // 000000003728: 82555580
	v_mfma_f32_16x16x32_fp8_fp8 v[84:87], a[78:79], a[62:63], v[84:87]// 00000000372C: D3F30054 1D527D4E
	ds_read_b128 a[24:27], v2 offset:1536                      // 000000003734: DBFE0600 18000002
	ds_read_b128 a[28:31], v2 offset:1600                      // 00000000373C: DBFE0640 1C000002
	s_addk_i32 s80, 0x80                                       // 000000003744: B7500080
	s_cmp_lt_i32 s80, s81                                      // 000000003748: BF045150
	s_cbranch_scc0 label_0355                                  // 00000000374C: BF840001
	s_branch label_0236                                        // 000000003750: BF82FEE1

0000000000003754 <label_0355>:
	v_mul_f32_dpp v56, v24, v56 row_newbcast:0 row_mask:0xf bank_mask:0xf// 000000003754: 0A7070FA FF015018
	v_mul_f32_dpp v57, v24, v57 row_newbcast:1 row_mask:0xf bank_mask:0xf// 00000000375C: 0A7272FA FF015118
	v_mul_f32_dpp v58, v24, v58 row_newbcast:2 row_mask:0xf bank_mask:0xf// 000000003764: 0A7474FA FF015218
	v_mul_f32_dpp v59, v24, v59 row_newbcast:3 row_mask:0xf bank_mask:0xf// 00000000376C: 0A7676FA FF015318
	v_mul_f32_dpp v60, v24, v60 row_newbcast:0 row_mask:0xf bank_mask:0xf// 000000003774: 0A7878FA FF015018
	v_mul_f32_dpp v61, v24, v61 row_newbcast:1 row_mask:0xf bank_mask:0xf// 00000000377C: 0A7A7AFA FF015118
	v_mul_f32_dpp v62, v24, v62 row_newbcast:2 row_mask:0xf bank_mask:0xf// 000000003784: 0A7C7CFA FF015218
	v_mul_f32_dpp v63, v24, v63 row_newbcast:3 row_mask:0xf bank_mask:0xf// 00000000378C: 0A7E7EFA FF015318
	v_mul_f32_dpp v64, v24, v64 row_newbcast:0 row_mask:0xf bank_mask:0xf// 000000003794: 0A8080FA FF015018
	v_mul_f32_dpp v65, v24, v65 row_newbcast:1 row_mask:0xf bank_mask:0xf// 00000000379C: 0A8282FA FF015118
	v_mul_f32_dpp v66, v24, v66 row_newbcast:2 row_mask:0xf bank_mask:0xf// 0000000037A4: 0A8484FA FF015218
	v_mul_f32_dpp v67, v24, v67 row_newbcast:3 row_mask:0xf bank_mask:0xf// 0000000037AC: 0A8686FA FF015318
	v_mul_f32_dpp v68, v24, v68 row_newbcast:0 row_mask:0xf bank_mask:0xf// 0000000037B4: 0A8888FA FF015018
	v_mul_f32_dpp v69, v24, v69 row_newbcast:1 row_mask:0xf bank_mask:0xf// 0000000037BC: 0A8A8AFA FF015118
	v_mul_f32_dpp v70, v24, v70 row_newbcast:2 row_mask:0xf bank_mask:0xf// 0000000037C4: 0A8C8CFA FF015218
	v_mul_f32_dpp v71, v24, v71 row_newbcast:3 row_mask:0xf bank_mask:0xf// 0000000037CC: 0A8E8EFA FF015318
	v_mul_f32_dpp v72, v26, v72 row_newbcast:0 row_mask:0xf bank_mask:0xf// 0000000037D4: 0A9090FA FF01501A
	v_mul_f32_dpp v73, v26, v73 row_newbcast:1 row_mask:0xf bank_mask:0xf// 0000000037DC: 0A9292FA FF01511A
	v_mul_f32_dpp v74, v26, v74 row_newbcast:2 row_mask:0xf bank_mask:0xf// 0000000037E4: 0A9494FA FF01521A
	v_mul_f32_dpp v75, v26, v75 row_newbcast:3 row_mask:0xf bank_mask:0xf// 0000000037EC: 0A9696FA FF01531A
	v_mul_f32_dpp v76, v26, v76 row_newbcast:0 row_mask:0xf bank_mask:0xf// 0000000037F4: 0A9898FA FF01501A
	v_mul_f32_dpp v77, v26, v77 row_newbcast:1 row_mask:0xf bank_mask:0xf// 0000000037FC: 0A9A9AFA FF01511A
	v_mul_f32_dpp v78, v26, v78 row_newbcast:2 row_mask:0xf bank_mask:0xf// 000000003804: 0A9C9CFA FF01521A
	v_mul_f32_dpp v79, v26, v79 row_newbcast:3 row_mask:0xf bank_mask:0xf// 00000000380C: 0A9E9EFA FF01531A
	v_mul_f32_dpp v80, v26, v80 row_newbcast:0 row_mask:0xf bank_mask:0xf// 000000003814: 0AA0A0FA FF01501A
	v_mul_f32_dpp v81, v26, v81 row_newbcast:1 row_mask:0xf bank_mask:0xf// 00000000381C: 0AA2A2FA FF01511A
	v_mul_f32_dpp v82, v26, v82 row_newbcast:2 row_mask:0xf bank_mask:0xf// 000000003824: 0AA4A4FA FF01521A
	v_mul_f32_dpp v83, v26, v83 row_newbcast:3 row_mask:0xf bank_mask:0xf// 00000000382C: 0AA6A6FA FF01531A
	v_mul_f32_dpp v84, v26, v84 row_newbcast:0 row_mask:0xf bank_mask:0xf// 000000003834: 0AA8A8FA FF01501A
	v_mul_f32_dpp v85, v26, v85 row_newbcast:1 row_mask:0xf bank_mask:0xf// 00000000383C: 0AAAAAFA FF01511A
	v_mul_f32_dpp v86, v26, v86 row_newbcast:2 row_mask:0xf bank_mask:0xf// 000000003844: 0AACACFA FF01521A
	v_mul_f32_dpp v87, v26, v87 row_newbcast:3 row_mask:0xf bank_mask:0xf// 00000000384C: 0AAEAEFA FF01531A
	v_mov_b32_e32 v4, v32                                      // 000000003854: 7E080320
	v_mov_b32_e32 v5, v4                                       // 000000003858: 7E0A0304
	v_pk_mul_f32 v[56:57], v[4:5], v[56:57]                    // 00000000385C: D3B14038 18027104
	v_pk_mul_f32 v[72:73], v[4:5], v[72:73]                    // 000000003864: D3B14048 18029104
	v_pk_mul_f32 v[58:59], v[4:5], v[58:59]                    // 00000000386C: D3B1403A 18027504
	v_pk_mul_f32 v[74:75], v[4:5], v[74:75]                    // 000000003874: D3B1404A 18029504
	v_mov_b32_e32 v4, v33                                      // 00000000387C: 7E080321
	v_mov_b32_e32 v5, v4                                       // 000000003880: 7E0A0304
	v_pk_mul_f32 v[60:61], v[4:5], v[60:61]                    // 000000003884: D3B1403C 18027904
	v_pk_mul_f32 v[76:77], v[4:5], v[76:77]                    // 00000000388C: D3B1404C 18029904
	v_pk_mul_f32 v[62:63], v[4:5], v[62:63]                    // 000000003894: D3B1403E 18027D04
	v_pk_mul_f32 v[78:79], v[4:5], v[78:79]                    // 00000000389C: D3B1404E 18029D04
	v_mov_b32_e32 v4, v34                                      // 0000000038A4: 7E080322
	v_mov_b32_e32 v5, v4                                       // 0000000038A8: 7E0A0304
	v_pk_mul_f32 v[64:65], v[4:5], v[64:65]                    // 0000000038AC: D3B14040 18028104
	v_pk_mul_f32 v[80:81], v[4:5], v[80:81]                    // 0000000038B4: D3B14050 1802A104
	v_pk_mul_f32 v[66:67], v[4:5], v[66:67]                    // 0000000038BC: D3B14042 18028504
	v_pk_mul_f32 v[82:83], v[4:5], v[82:83]                    // 0000000038C4: D3B14052 1802A504
	v_mov_b32_e32 v4, v35                                      // 0000000038CC: 7E080323
	v_mov_b32_e32 v5, v4                                       // 0000000038D0: 7E0A0304
	v_pk_mul_f32 v[68:69], v[4:5], v[68:69]                    // 0000000038D4: D3B14044 18028904
	v_pk_mul_f32 v[84:85], v[4:5], v[84:85]                    // 0000000038DC: D3B14054 1802A904
	v_pk_mul_f32 v[70:71], v[4:5], v[70:71]                    // 0000000038E4: D3B14046 18028D04
	v_pk_mul_f32 v[86:87], v[4:5], v[86:87]                    // 0000000038EC: D3B14056 1802AD04
	s_cmp_eq_u32 s88, 0                                        // 0000000038F4: BF068058
	s_cbranch_scc0 label_06C8                                  // 0000000038F8: BF840309
	s_cmp_eq_u32 s89, 0                                        // 0000000038FC: BF068059
	s_cbranch_scc1 label_0466                                  // 000000003900: BF8500A5
	v_mov_b32_e32 v8, v1                                       // 000000003904: 7E100301
	v_mov_b32_e32 v9, v1                                       // 000000003908: 7E120301
	s_mov_b32 s60, s6                                          // 00000000390C: BEBC0006
	s_mov_b32 s61, s6                                          // 000000003910: BEBD0006
	v_pk_mul_f32 v[4:5], v[56:57], v[56:57]                    // 000000003914: D3B14004 18027138
	v_pk_mul_f32 v[6:7], v[58:59], v[58:59]                    // 00000000391C: D3B14006 1802753A
	v_pk_fma_f32 v[4:5], v[4:5], s[78:79], v[8:9]              // 000000003924: D3B04004 1C209D04
	v_pk_fma_f32 v[6:7], v[6:7], s[78:79], v[8:9]              // 00000000392C: D3B04006 1C209D06
	v_pk_mul_f32 v[4:5], v[4:5], v[56:57]                      // 000000003934: D3B14004 18027104
	v_pk_mul_f32 v[6:7], v[6:7], v[58:59]                      // 00000000393C: D3B14006 18027506
	v_pk_mul_f32 v[4:5], v[4:5], s[60:61]                      // 000000003944: D3B14004 18007904
	v_pk_mul_f32 v[6:7], v[6:7], s[60:61]                      // 00000000394C: D3B14006 18007906
	v_exp_f32_e32 v4, v4                                       // 000000003954: 7E084104
	v_exp_f32_e32 v5, v5                                       // 000000003958: 7E0A4105
	v_exp_f32_e32 v6, v6                                       // 00000000395C: 7E0C4106
	v_exp_f32_e32 v7, v7                                       // 000000003960: 7E0E4107
	v_add_f32_e64 v4, v4, 1.0                                  // 000000003964: D1010004 0001E504
	v_add_f32_e64 v5, v5, 1.0                                  // 00000000396C: D1010005 0001E505
	v_add_f32_e64 v6, v6, 1.0                                  // 000000003974: D1010006 0001E506
	v_add_f32_e64 v7, v7, 1.0                                  // 00000000397C: D1010007 0001E507
	v_rcp_f32_e32 v4, v4                                       // 000000003984: 7E084504
	v_rcp_f32_e32 v5, v5                                       // 000000003988: 7E0A4505
	v_rcp_f32_e32 v6, v6                                       // 00000000398C: 7E0C4506
	v_rcp_f32_e32 v7, v7                                       // 000000003990: 7E0E4507
	v_mul_f32_e32 v56, v56, v4                                 // 000000003994: 0A700938
	v_mul_f32_e32 v57, v57, v5                                 // 000000003998: 0A720B39
	v_mul_f32_e32 v58, v58, v6                                 // 00000000399C: 0A740D3A
	v_mul_f32_e32 v59, v59, v7                                 // 0000000039A0: 0A760F3B
	v_mul_f32_e32 v56, v56, v72                                // 0000000039A4: 0A709138
	v_mul_f32_e32 v57, v57, v73                                // 0000000039A8: 0A729339
	v_mul_f32_e32 v58, v58, v74                                // 0000000039AC: 0A74953A
	v_mul_f32_e32 v59, v59, v75                                // 0000000039B0: 0A76973B
	v_pk_mul_f32 v[4:5], v[60:61], v[60:61]                    // 0000000039B4: D3B14004 1802793C
	v_pk_mul_f32 v[6:7], v[62:63], v[62:63]                    // 0000000039BC: D3B14006 18027D3E
	v_pk_fma_f32 v[4:5], v[4:5], s[78:79], v[8:9]              // 0000000039C4: D3B04004 1C209D04
	v_pk_fma_f32 v[6:7], v[6:7], s[78:79], v[8:9]              // 0000000039CC: D3B04006 1C209D06
	v_pk_mul_f32 v[4:5], v[4:5], v[60:61]                      // 0000000039D4: D3B14004 18027904
	v_pk_mul_f32 v[6:7], v[6:7], v[62:63]                      // 0000000039DC: D3B14006 18027D06
	v_pk_mul_f32 v[4:5], v[4:5], s[60:61]                      // 0000000039E4: D3B14004 18007904
	v_pk_mul_f32 v[6:7], v[6:7], s[60:61]                      // 0000000039EC: D3B14006 18007906
	v_exp_f32_e32 v4, v4                                       // 0000000039F4: 7E084104
	v_exp_f32_e32 v5, v5                                       // 0000000039F8: 7E0A4105
	v_exp_f32_e32 v6, v6                                       // 0000000039FC: 7E0C4106
	v_exp_f32_e32 v7, v7                                       // 000000003A00: 7E0E4107
	v_add_f32_e64 v4, v4, 1.0                                  // 000000003A04: D1010004 0001E504
	v_add_f32_e64 v5, v5, 1.0                                  // 000000003A0C: D1010005 0001E505
	v_add_f32_e64 v6, v6, 1.0                                  // 000000003A14: D1010006 0001E506
	v_add_f32_e64 v7, v7, 1.0                                  // 000000003A1C: D1010007 0001E507
	v_rcp_f32_e32 v4, v4                                       // 000000003A24: 7E084504
	v_rcp_f32_e32 v5, v5                                       // 000000003A28: 7E0A4505
	v_rcp_f32_e32 v6, v6                                       // 000000003A2C: 7E0C4506
	v_rcp_f32_e32 v7, v7                                       // 000000003A30: 7E0E4507
	v_mul_f32_e32 v60, v60, v4                                 // 000000003A34: 0A78093C
	v_mul_f32_e32 v61, v61, v5                                 // 000000003A38: 0A7A0B3D
	v_mul_f32_e32 v62, v62, v6                                 // 000000003A3C: 0A7C0D3E
	v_mul_f32_e32 v63, v63, v7                                 // 000000003A40: 0A7E0F3F
	v_mul_f32_e32 v60, v60, v76                                // 000000003A44: 0A78993C
	v_mul_f32_e32 v61, v61, v77                                // 000000003A48: 0A7A9B3D
	v_mul_f32_e32 v62, v62, v78                                // 000000003A4C: 0A7C9D3E
	v_mul_f32_e32 v63, v63, v79                                // 000000003A50: 0A7E9F3F
	v_pk_mul_f32 v[4:5], v[64:65], v[64:65]                    // 000000003A54: D3B14004 18028140
	v_pk_mul_f32 v[6:7], v[66:67], v[66:67]                    // 000000003A5C: D3B14006 18028542
	v_pk_fma_f32 v[4:5], v[4:5], s[78:79], v[8:9]              // 000000003A64: D3B04004 1C209D04
	v_pk_fma_f32 v[6:7], v[6:7], s[78:79], v[8:9]              // 000000003A6C: D3B04006 1C209D06
	v_pk_mul_f32 v[4:5], v[4:5], v[64:65]                      // 000000003A74: D3B14004 18028104
	v_pk_mul_f32 v[6:7], v[6:7], v[66:67]                      // 000000003A7C: D3B14006 18028506
	v_pk_mul_f32 v[4:5], v[4:5], s[60:61]                      // 000000003A84: D3B14004 18007904
	v_pk_mul_f32 v[6:7], v[6:7], s[60:61]                      // 000000003A8C: D3B14006 18007906
	v_exp_f32_e32 v4, v4                                       // 000000003A94: 7E084104
	v_exp_f32_e32 v5, v5                                       // 000000003A98: 7E0A4105
	v_exp_f32_e32 v6, v6                                       // 000000003A9C: 7E0C4106
	v_exp_f32_e32 v7, v7                                       // 000000003AA0: 7E0E4107
	v_add_f32_e64 v4, v4, 1.0                                  // 000000003AA4: D1010004 0001E504
	v_add_f32_e64 v5, v5, 1.0                                  // 000000003AAC: D1010005 0001E505
	v_add_f32_e64 v6, v6, 1.0                                  // 000000003AB4: D1010006 0001E506
	v_add_f32_e64 v7, v7, 1.0                                  // 000000003ABC: D1010007 0001E507
	v_rcp_f32_e32 v4, v4                                       // 000000003AC4: 7E084504
	v_rcp_f32_e32 v5, v5                                       // 000000003AC8: 7E0A4505
	v_rcp_f32_e32 v6, v6                                       // 000000003ACC: 7E0C4506
	v_rcp_f32_e32 v7, v7                                       // 000000003AD0: 7E0E4507
	v_mul_f32_e32 v64, v64, v4                                 // 000000003AD4: 0A800940
	v_mul_f32_e32 v65, v65, v5                                 // 000000003AD8: 0A820B41
	v_mul_f32_e32 v66, v66, v6                                 // 000000003ADC: 0A840D42
	v_mul_f32_e32 v67, v67, v7                                 // 000000003AE0: 0A860F43
	v_mul_f32_e32 v64, v64, v80                                // 000000003AE4: 0A80A140
	v_mul_f32_e32 v65, v65, v81                                // 000000003AE8: 0A82A341
	v_mul_f32_e32 v66, v66, v82                                // 000000003AEC: 0A84A542
	v_mul_f32_e32 v67, v67, v83                                // 000000003AF0: 0A86A743
	v_pk_mul_f32 v[4:5], v[68:69], v[68:69]                    // 000000003AF4: D3B14004 18028944
	v_pk_mul_f32 v[6:7], v[70:71], v[70:71]                    // 000000003AFC: D3B14006 18028D46
	v_pk_fma_f32 v[4:5], v[4:5], s[78:79], v[8:9]              // 000000003B04: D3B04004 1C209D04
	v_pk_fma_f32 v[6:7], v[6:7], s[78:79], v[8:9]              // 000000003B0C: D3B04006 1C209D06
	v_pk_mul_f32 v[4:5], v[4:5], v[68:69]                      // 000000003B14: D3B14004 18028904
	v_pk_mul_f32 v[6:7], v[6:7], v[70:71]                      // 000000003B1C: D3B14006 18028D06
	v_pk_mul_f32 v[4:5], v[4:5], s[60:61]                      // 000000003B24: D3B14004 18007904
	v_pk_mul_f32 v[6:7], v[6:7], s[60:61]                      // 000000003B2C: D3B14006 18007906
	v_exp_f32_e32 v4, v4                                       // 000000003B34: 7E084104
	v_exp_f32_e32 v5, v5                                       // 000000003B38: 7E0A4105
	v_exp_f32_e32 v6, v6                                       // 000000003B3C: 7E0C4106
	v_exp_f32_e32 v7, v7                                       // 000000003B40: 7E0E4107
	v_add_f32_e64 v4, v4, 1.0                                  // 000000003B44: D1010004 0001E504
	v_add_f32_e64 v5, v5, 1.0                                  // 000000003B4C: D1010005 0001E505
	v_add_f32_e64 v6, v6, 1.0                                  // 000000003B54: D1010006 0001E506
	v_add_f32_e64 v7, v7, 1.0                                  // 000000003B5C: D1010007 0001E507
	v_rcp_f32_e32 v4, v4                                       // 000000003B64: 7E084504
	v_rcp_f32_e32 v5, v5                                       // 000000003B68: 7E0A4505
	v_rcp_f32_e32 v6, v6                                       // 000000003B6C: 7E0C4506
	v_rcp_f32_e32 v7, v7                                       // 000000003B70: 7E0E4507
	v_mul_f32_e32 v68, v68, v4                                 // 000000003B74: 0A880944
	v_mul_f32_e32 v69, v69, v5                                 // 000000003B78: 0A8A0B45
	v_mul_f32_e32 v70, v70, v6                                 // 000000003B7C: 0A8C0D46
	v_mul_f32_e32 v71, v71, v7                                 // 000000003B80: 0A8E0F47
	v_mul_f32_e32 v68, v68, v84                                // 000000003B84: 0A88A944
	v_mul_f32_e32 v69, v69, v85                                // 000000003B88: 0A8AAB45
	v_mul_f32_e32 v70, v70, v86                                // 000000003B8C: 0A8CAD46
	v_mul_f32_e32 v71, v71, v87                                // 000000003B90: 0A8EAF47
	s_branch label_04E6                                        // 000000003B94: BF820080

0000000000003b98 <label_0466>:
	v_mul_f32_e64 v4, -v56, s6                                 // 000000003B98: D1050004 20000D38
	v_mul_f32_e64 v5, -v57, s6                                 // 000000003BA0: D1050005 20000D39
	v_mul_f32_e64 v6, -v58, s6                                 // 000000003BA8: D1050006 20000D3A
	v_mul_f32_e64 v7, -v59, s6                                 // 000000003BB0: D1050007 20000D3B
	v_exp_f32_e32 v4, v4                                       // 000000003BB8: 7E084104
	v_exp_f32_e32 v5, v5                                       // 000000003BBC: 7E0A4105
	v_exp_f32_e32 v6, v6                                       // 000000003BC0: 7E0C4106
	v_exp_f32_e32 v7, v7                                       // 000000003BC4: 7E0E4107
	v_add_f32_e64 v4, v4, 1.0                                  // 000000003BC8: D1010004 0001E504
	v_add_f32_e64 v5, v5, 1.0                                  // 000000003BD0: D1010005 0001E505
	v_add_f32_e64 v6, v6, 1.0                                  // 000000003BD8: D1010006 0001E506
	v_add_f32_e64 v7, v7, 1.0                                  // 000000003BE0: D1010007 0001E507
	v_rcp_f32_e32 v4, v4                                       // 000000003BE8: 7E084504
	v_rcp_f32_e32 v5, v5                                       // 000000003BEC: 7E0A4505
	v_rcp_f32_e32 v6, v6                                       // 000000003BF0: 7E0C4506
	v_rcp_f32_e32 v7, v7                                       // 000000003BF4: 7E0E4507
	v_mul_f32_e32 v56, v56, v4                                 // 000000003BF8: 0A700938
	v_mul_f32_e32 v57, v57, v5                                 // 000000003BFC: 0A720B39
	v_mul_f32_e32 v58, v58, v6                                 // 000000003C00: 0A740D3A
	v_mul_f32_e32 v59, v59, v7                                 // 000000003C04: 0A760F3B
	v_mul_f32_e32 v56, v56, v72                                // 000000003C08: 0A709138
	v_mul_f32_e32 v57, v57, v73                                // 000000003C0C: 0A729339
	v_mul_f32_e32 v58, v58, v74                                // 000000003C10: 0A74953A
	v_mul_f32_e32 v59, v59, v75                                // 000000003C14: 0A76973B
	v_mul_f32_e64 v4, -v60, s6                                 // 000000003C18: D1050004 20000D3C
	v_mul_f32_e64 v5, -v61, s6                                 // 000000003C20: D1050005 20000D3D
	v_mul_f32_e64 v6, -v62, s6                                 // 000000003C28: D1050006 20000D3E
	v_mul_f32_e64 v7, -v63, s6                                 // 000000003C30: D1050007 20000D3F
	v_exp_f32_e32 v4, v4                                       // 000000003C38: 7E084104
	v_exp_f32_e32 v5, v5                                       // 000000003C3C: 7E0A4105
	v_exp_f32_e32 v6, v6                                       // 000000003C40: 7E0C4106
	v_exp_f32_e32 v7, v7                                       // 000000003C44: 7E0E4107
	v_add_f32_e64 v4, v4, 1.0                                  // 000000003C48: D1010004 0001E504
	v_add_f32_e64 v5, v5, 1.0                                  // 000000003C50: D1010005 0001E505
	v_add_f32_e64 v6, v6, 1.0                                  // 000000003C58: D1010006 0001E506
	v_add_f32_e64 v7, v7, 1.0                                  // 000000003C60: D1010007 0001E507
	v_rcp_f32_e32 v4, v4                                       // 000000003C68: 7E084504
	v_rcp_f32_e32 v5, v5                                       // 000000003C6C: 7E0A4505
	v_rcp_f32_e32 v6, v6                                       // 000000003C70: 7E0C4506
	v_rcp_f32_e32 v7, v7                                       // 000000003C74: 7E0E4507
	v_mul_f32_e32 v60, v60, v4                                 // 000000003C78: 0A78093C
	v_mul_f32_e32 v61, v61, v5                                 // 000000003C7C: 0A7A0B3D
	v_mul_f32_e32 v62, v62, v6                                 // 000000003C80: 0A7C0D3E
	v_mul_f32_e32 v63, v63, v7                                 // 000000003C84: 0A7E0F3F
	v_mul_f32_e32 v60, v60, v76                                // 000000003C88: 0A78993C
	v_mul_f32_e32 v61, v61, v77                                // 000000003C8C: 0A7A9B3D
	v_mul_f32_e32 v62, v62, v78                                // 000000003C90: 0A7C9D3E
	v_mul_f32_e32 v63, v63, v79                                // 000000003C94: 0A7E9F3F
	v_mul_f32_e64 v4, -v64, s6                                 // 000000003C98: D1050004 20000D40
	v_mul_f32_e64 v5, -v65, s6                                 // 000000003CA0: D1050005 20000D41
	v_mul_f32_e64 v6, -v66, s6                                 // 000000003CA8: D1050006 20000D42
	v_mul_f32_e64 v7, -v67, s6                                 // 000000003CB0: D1050007 20000D43
	v_exp_f32_e32 v4, v4                                       // 000000003CB8: 7E084104
	v_exp_f32_e32 v5, v5                                       // 000000003CBC: 7E0A4105
	v_exp_f32_e32 v6, v6                                       // 000000003CC0: 7E0C4106
	v_exp_f32_e32 v7, v7                                       // 000000003CC4: 7E0E4107
	v_add_f32_e64 v4, v4, 1.0                                  // 000000003CC8: D1010004 0001E504
	v_add_f32_e64 v5, v5, 1.0                                  // 000000003CD0: D1010005 0001E505
	v_add_f32_e64 v6, v6, 1.0                                  // 000000003CD8: D1010006 0001E506
	v_add_f32_e64 v7, v7, 1.0                                  // 000000003CE0: D1010007 0001E507
	v_rcp_f32_e32 v4, v4                                       // 000000003CE8: 7E084504
	v_rcp_f32_e32 v5, v5                                       // 000000003CEC: 7E0A4505
	v_rcp_f32_e32 v6, v6                                       // 000000003CF0: 7E0C4506
	v_rcp_f32_e32 v7, v7                                       // 000000003CF4: 7E0E4507
	v_mul_f32_e32 v64, v64, v4                                 // 000000003CF8: 0A800940
	v_mul_f32_e32 v65, v65, v5                                 // 000000003CFC: 0A820B41
	v_mul_f32_e32 v66, v66, v6                                 // 000000003D00: 0A840D42
	v_mul_f32_e32 v67, v67, v7                                 // 000000003D04: 0A860F43
	v_mul_f32_e32 v64, v64, v80                                // 000000003D08: 0A80A140
	v_mul_f32_e32 v65, v65, v81                                // 000000003D0C: 0A82A341
	v_mul_f32_e32 v66, v66, v82                                // 000000003D10: 0A84A542
	v_mul_f32_e32 v67, v67, v83                                // 000000003D14: 0A86A743
	v_mul_f32_e64 v4, -v68, s6                                 // 000000003D18: D1050004 20000D44
	v_mul_f32_e64 v5, -v69, s6                                 // 000000003D20: D1050005 20000D45
	v_mul_f32_e64 v6, -v70, s6                                 // 000000003D28: D1050006 20000D46
	v_mul_f32_e64 v7, -v71, s6                                 // 000000003D30: D1050007 20000D47
	v_exp_f32_e32 v4, v4                                       // 000000003D38: 7E084104
	v_exp_f32_e32 v5, v5                                       // 000000003D3C: 7E0A4105
	v_exp_f32_e32 v6, v6                                       // 000000003D40: 7E0C4106
	v_exp_f32_e32 v7, v7                                       // 000000003D44: 7E0E4107
	v_add_f32_e64 v4, v4, 1.0                                  // 000000003D48: D1010004 0001E504
	v_add_f32_e64 v5, v5, 1.0                                  // 000000003D50: D1010005 0001E505
	v_add_f32_e64 v6, v6, 1.0                                  // 000000003D58: D1010006 0001E506
	v_add_f32_e64 v7, v7, 1.0                                  // 000000003D60: D1010007 0001E507
	v_rcp_f32_e32 v4, v4                                       // 000000003D68: 7E084504
	v_rcp_f32_e32 v5, v5                                       // 000000003D6C: 7E0A4505
	v_rcp_f32_e32 v6, v6                                       // 000000003D70: 7E0C4506
	v_rcp_f32_e32 v7, v7                                       // 000000003D74: 7E0E4507
	v_mul_f32_e32 v68, v68, v4                                 // 000000003D78: 0A880944
	v_mul_f32_e32 v69, v69, v5                                 // 000000003D7C: 0A8A0B45
	v_mul_f32_e32 v70, v70, v6                                 // 000000003D80: 0A8C0D46
	v_mul_f32_e32 v71, v71, v7                                 // 000000003D84: 0A8E0F47
	v_mul_f32_e32 v68, v68, v84                                // 000000003D88: 0A88A944
	v_mul_f32_e32 v69, v69, v85                                // 000000003D8C: 0A8AAB45
	v_mul_f32_e32 v70, v70, v86                                // 000000003D90: 0A8CAD46
	v_mul_f32_e32 v71, v71, v87                                // 000000003D94: 0A8EAF47

0000000000003d98 <label_04E6>:
	v_cmp_u_f32_e64 s[46:47], v56, v56                         // 000000003D98: D048002E 00027138
	v_add3_u32 v16, v56, v19, 1                                // 000000003DA0: D1FF0010 02062738
	v_cndmask_b32_e64 v4, v16, v18, s[46:47]                   // 000000003DA8: D1000004 00BA2510
	v_cmp_u_f32_e64 s[46:47], v57, v57                         // 000000003DB0: D048002E 00027339
	v_add3_u32 v16, v57, v19, 1                                // 000000003DB8: D1FF0010 02062739
	v_cndmask_b32_e64 v5, v16, v18, s[46:47]                   // 000000003DC0: D1000005 00BA2510
	v_perm_b32 v56, v5, v4, s52                                // 000000003DC8: D1ED0038 00D20905
	v_cmp_u_f32_e64 s[46:47], v58, v58                         // 000000003DD0: D048002E 0002753A
	v_add3_u32 v16, v58, v19, 1                                // 000000003DD8: D1FF0010 0206273A
	v_cndmask_b32_e64 v4, v16, v18, s[46:47]                   // 000000003DE0: D1000004 00BA2510
	v_cmp_u_f32_e64 s[46:47], v59, v59                         // 000000003DE8: D048002E 0002773B
	v_add3_u32 v16, v59, v19, 1                                // 000000003DF0: D1FF0010 0206273B
	v_cndmask_b32_e64 v5, v16, v18, s[46:47]                   // 000000003DF8: D1000005 00BA2510
	v_perm_b32 v57, v5, v4, s52                                // 000000003E00: D1ED0039 00D20905
	v_cmp_u_f32_e64 s[46:47], v60, v60                         // 000000003E08: D048002E 0002793C
	v_add3_u32 v16, v60, v19, 1                                // 000000003E10: D1FF0010 0206273C
	v_cndmask_b32_e64 v4, v16, v18, s[46:47]                   // 000000003E18: D1000004 00BA2510
	v_cmp_u_f32_e64 s[46:47], v61, v61                         // 000000003E20: D048002E 00027B3D
	v_add3_u32 v16, v61, v19, 1                                // 000000003E28: D1FF0010 0206273D
	v_cndmask_b32_e64 v5, v16, v18, s[46:47]                   // 000000003E30: D1000005 00BA2510
	v_perm_b32 v58, v5, v4, s52                                // 000000003E38: D1ED003A 00D20905
	v_cmp_u_f32_e64 s[46:47], v62, v62                         // 000000003E40: D048002E 00027D3E
	v_add3_u32 v16, v62, v19, 1                                // 000000003E48: D1FF0010 0206273E
	v_cndmask_b32_e64 v4, v16, v18, s[46:47]                   // 000000003E50: D1000004 00BA2510
	v_cmp_u_f32_e64 s[46:47], v63, v63                         // 000000003E58: D048002E 00027F3F
	v_add3_u32 v16, v63, v19, 1                                // 000000003E60: D1FF0010 0206273F
	v_cndmask_b32_e64 v5, v16, v18, s[46:47]                   // 000000003E68: D1000005 00BA2510
	v_perm_b32 v59, v5, v4, s52                                // 000000003E70: D1ED003B 00D20905
	v_cmp_u_f32_e64 s[46:47], v64, v64                         // 000000003E78: D048002E 00028140
	v_add3_u32 v16, v64, v19, 1                                // 000000003E80: D1FF0010 02062740
	v_cndmask_b32_e64 v4, v16, v18, s[46:47]                   // 000000003E88: D1000004 00BA2510
	v_cmp_u_f32_e64 s[46:47], v65, v65                         // 000000003E90: D048002E 00028341
	v_add3_u32 v16, v65, v19, 1                                // 000000003E98: D1FF0010 02062741
	v_cndmask_b32_e64 v5, v16, v18, s[46:47]                   // 000000003EA0: D1000005 00BA2510
	v_perm_b32 v60, v5, v4, s52                                // 000000003EA8: D1ED003C 00D20905
	v_cmp_u_f32_e64 s[46:47], v66, v66                         // 000000003EB0: D048002E 00028542
	v_add3_u32 v16, v66, v19, 1                                // 000000003EB8: D1FF0010 02062742
	v_cndmask_b32_e64 v4, v16, v18, s[46:47]                   // 000000003EC0: D1000004 00BA2510
	v_cmp_u_f32_e64 s[46:47], v67, v67                         // 000000003EC8: D048002E 00028743
	v_add3_u32 v16, v67, v19, 1                                // 000000003ED0: D1FF0010 02062743
	v_cndmask_b32_e64 v5, v16, v18, s[46:47]                   // 000000003ED8: D1000005 00BA2510
	v_perm_b32 v61, v5, v4, s52                                // 000000003EE0: D1ED003D 00D20905
	v_cmp_u_f32_e64 s[46:47], v68, v68                         // 000000003EE8: D048002E 00028944
	v_add3_u32 v16, v68, v19, 1                                // 000000003EF0: D1FF0010 02062744
	v_cndmask_b32_e64 v4, v16, v18, s[46:47]                   // 000000003EF8: D1000004 00BA2510
	v_cmp_u_f32_e64 s[46:47], v69, v69                         // 000000003F00: D048002E 00028B45
	v_add3_u32 v16, v69, v19, 1                                // 000000003F08: D1FF0010 02062745
	v_cndmask_b32_e64 v5, v16, v18, s[46:47]                   // 000000003F10: D1000005 00BA2510
	v_perm_b32 v62, v5, v4, s52                                // 000000003F18: D1ED003E 00D20905
	v_cmp_u_f32_e64 s[46:47], v70, v70                         // 000000003F20: D048002E 00028D46
	v_add3_u32 v16, v70, v19, 1                                // 000000003F28: D1FF0010 02062746
	v_cndmask_b32_e64 v4, v16, v18, s[46:47]                   // 000000003F30: D1000004 00BA2510
	v_cmp_u_f32_e64 s[46:47], v71, v71                         // 000000003F38: D048002E 00028F47
	v_add3_u32 v16, v71, v19, 1                                // 000000003F40: D1FF0010 02062747
	v_cndmask_b32_e64 v5, v16, v18, s[46:47]                   // 000000003F48: D1000005 00BA2510
	v_perm_b32 v63, v5, v4, s52                                // 000000003F50: D1ED003F 00D20905
	ds_write_b64 v20, v[56:57]                                 // 000000003F58: D89A0000 00003814
	ds_write_b64 v20, v[58:59] offset:2176                     // 000000003F60: D89A0880 00003A14
	ds_write_b64 v20, v[60:61] offset:4352                     // 000000003F68: D89A1100 00003C14
	ds_write_b64 v20, v[62:63] offset:6528                     // 000000003F70: D89A1980 00003E14
	v_lshrrev_b32_e32 v4, 5, v0                                // 000000003F78: 20080085
	v_xor_b32_e32 v5, 1, v4                                    // 000000003F7C: 2A0A0881
	s_mul_i32 s60, s65, 2                                      // 000000003F80: 923C8241
	s_cmp_eq_u32 s88, 0                                        // 000000003F84: BF068058
	s_cselect_b32 s61, 1, 4                                    // 000000003F88: 853D8481
	s_mul_i32 s60, s61, s60                                    // 000000003F8C: 923C3C3D
	v_readlane_b32 s82, v3, 0                                  // 000000003F90: D2890052 00010103
	s_lshr_b32 s61, s82, 24                                    // 000000003F98: 8F3D9852
	s_and_b32 s82, s82, 0xffffff                               // 000000003F9C: 8652FF52 00FFFFFF
	s_mul_i32 s82, s82, s71                                    // 000000003FA4: 92524752
	s_mul_i32 s61, s60, s61                                    // 000000003FA8: 923D3D3C
	s_add_u32 s82, s82, s61                                    // 000000003FAC: 80523D52
	v_mul_lo_u32 v6, v5, s82                                   // 000000003FB0: D2850006 0000A505
	v_readlane_b32 s82, v3, 1                                  // 000000003FB8: D2890052 00010303
	s_lshr_b32 s61, s82, 24                                    // 000000003FC0: 8F3D9852
	s_and_b32 s82, s82, 0xffffff                               // 000000003FC4: 8652FF52 00FFFFFF
	s_mul_i32 s82, s82, s71                                    // 000000003FCC: 92524752
	s_mul_i32 s61, s60, s61                                    // 000000003FD0: 923D3D3C
	s_add_u32 s82, s82, s61                                    // 000000003FD4: 80523D52
	v_mul_lo_u32 v7, v4, s82                                   // 000000003FD8: D2850007 0000A504
	v_add_u32_e32 v44, v6, v7                                  // 000000003FE0: 68580F06
	v_readlane_b32 s82, v3, 2                                  // 000000003FE4: D2890052 00010503
	s_lshr_b32 s61, s82, 24                                    // 000000003FEC: 8F3D9852
	s_and_b32 s82, s82, 0xffffff                               // 000000003FF0: 8652FF52 00FFFFFF
	s_mul_i32 s82, s82, s71                                    // 000000003FF8: 92524752
	s_mul_i32 s61, s60, s61                                    // 000000003FFC: 923D3D3C
	s_add_u32 s82, s82, s61                                    // 000000004000: 80523D52
	v_mul_lo_u32 v6, v5, s82                                   // 000000004004: D2850006 0000A505
	v_readlane_b32 s82, v3, 3                                  // 00000000400C: D2890052 00010703
	s_lshr_b32 s61, s82, 24                                    // 000000004014: 8F3D9852
	s_and_b32 s82, s82, 0xffffff                               // 000000004018: 8652FF52 00FFFFFF
	s_mul_i32 s82, s82, s71                                    // 000000004020: 92524752
	s_mul_i32 s61, s60, s61                                    // 000000004024: 923D3D3C
	s_add_u32 s82, s82, s61                                    // 000000004028: 80523D52
	v_mul_lo_u32 v7, v4, s82                                   // 00000000402C: D2850007 0000A504
	v_add_u32_e32 v45, v6, v7                                  // 000000004034: 685A0F06
	v_readlane_b32 s82, v3, 4                                  // 000000004038: D2890052 00010903
	s_lshr_b32 s61, s82, 24                                    // 000000004040: 8F3D9852
	s_and_b32 s82, s82, 0xffffff                               // 000000004044: 8652FF52 00FFFFFF
	s_mul_i32 s82, s82, s71                                    // 00000000404C: 92524752
	s_mul_i32 s61, s60, s61                                    // 000000004050: 923D3D3C
	s_add_u32 s82, s82, s61                                    // 000000004054: 80523D52
	v_mul_lo_u32 v6, v5, s82                                   // 000000004058: D2850006 0000A505
	v_readlane_b32 s82, v3, 5                                  // 000000004060: D2890052 00010B03
	s_lshr_b32 s61, s82, 24                                    // 000000004068: 8F3D9852
	s_and_b32 s82, s82, 0xffffff                               // 00000000406C: 8652FF52 00FFFFFF
	s_mul_i32 s82, s82, s71                                    // 000000004074: 92524752
	s_mul_i32 s61, s60, s61                                    // 000000004078: 923D3D3C
	s_add_u32 s82, s82, s61                                    // 00000000407C: 80523D52
	v_mul_lo_u32 v7, v4, s82                                   // 000000004080: D2850007 0000A504
	v_add_u32_e32 v46, v6, v7                                  // 000000004088: 685C0F06
	v_readlane_b32 s82, v3, 6                                  // 00000000408C: D2890052 00010D03
	s_lshr_b32 s61, s82, 24                                    // 000000004094: 8F3D9852
	s_and_b32 s82, s82, 0xffffff                               // 000000004098: 8652FF52 00FFFFFF
	s_mul_i32 s82, s82, s71                                    // 0000000040A0: 92524752
	s_mul_i32 s61, s60, s61                                    // 0000000040A4: 923D3D3C
	s_add_u32 s82, s82, s61                                    // 0000000040A8: 80523D52
	v_mul_lo_u32 v6, v5, s82                                   // 0000000040AC: D2850006 0000A505
	v_readlane_b32 s82, v3, 7                                  // 0000000040B4: D2890052 00010F03
	s_lshr_b32 s61, s82, 24                                    // 0000000040BC: 8F3D9852
	s_and_b32 s82, s82, 0xffffff                               // 0000000040C0: 8652FF52 00FFFFFF
	s_mul_i32 s82, s82, s71                                    // 0000000040C8: 92524752
	s_mul_i32 s61, s60, s61                                    // 0000000040CC: 923D3D3C
	s_add_u32 s82, s82, s61                                    // 0000000040D0: 80523D52
	v_mul_lo_u32 v7, v4, s82                                   // 0000000040D4: D2850007 0000A504
	v_add_u32_e32 v47, v6, v7                                  // 0000000040DC: 685E0F06
	v_readlane_b32 s82, v3, 8                                  // 0000000040E0: D2890052 00011103
	s_lshr_b32 s61, s82, 24                                    // 0000000040E8: 8F3D9852
	s_and_b32 s82, s82, 0xffffff                               // 0000000040EC: 8652FF52 00FFFFFF
	s_mul_i32 s82, s82, s71                                    // 0000000040F4: 92524752
	s_mul_i32 s61, s60, s61                                    // 0000000040F8: 923D3D3C
	s_add_u32 s82, s82, s61                                    // 0000000040FC: 80523D52
	v_mul_lo_u32 v6, v5, s82                                   // 000000004100: D2850006 0000A505
	v_readlane_b32 s82, v3, 9                                  // 000000004108: D2890052 00011303
	s_lshr_b32 s61, s82, 24                                    // 000000004110: 8F3D9852
	s_and_b32 s82, s82, 0xffffff                               // 000000004114: 8652FF52 00FFFFFF
	s_mul_i32 s82, s82, s71                                    // 00000000411C: 92524752
	s_mul_i32 s61, s60, s61                                    // 000000004120: 923D3D3C
	s_add_u32 s82, s82, s61                                    // 000000004124: 80523D52
	v_mul_lo_u32 v7, v4, s82                                   // 000000004128: D2850007 0000A504
	v_add_u32_e32 v48, v6, v7                                  // 000000004130: 68600F06
	v_readlane_b32 s82, v3, 10                                 // 000000004134: D2890052 00011503
	s_lshr_b32 s61, s82, 24                                    // 00000000413C: 8F3D9852
	s_and_b32 s82, s82, 0xffffff                               // 000000004140: 8652FF52 00FFFFFF
	s_mul_i32 s82, s82, s71                                    // 000000004148: 92524752
	s_mul_i32 s61, s60, s61                                    // 00000000414C: 923D3D3C
	s_add_u32 s82, s82, s61                                    // 000000004150: 80523D52
	v_mul_lo_u32 v6, v5, s82                                   // 000000004154: D2850006 0000A505
	v_readlane_b32 s82, v3, 11                                 // 00000000415C: D2890052 00011703
	s_lshr_b32 s61, s82, 24                                    // 000000004164: 8F3D9852
	s_and_b32 s82, s82, 0xffffff                               // 000000004168: 8652FF52 00FFFFFF
	s_mul_i32 s82, s82, s71                                    // 000000004170: 92524752
	s_mul_i32 s61, s60, s61                                    // 000000004174: 923D3D3C
	s_add_u32 s82, s82, s61                                    // 000000004178: 80523D52
	v_mul_lo_u32 v7, v4, s82                                   // 00000000417C: D2850007 0000A504
	v_add_u32_e32 v49, v6, v7                                  // 000000004184: 68620F06
	v_readlane_b32 s82, v3, 12                                 // 000000004188: D2890052 00011903
	s_lshr_b32 s61, s82, 24                                    // 000000004190: 8F3D9852
	s_and_b32 s82, s82, 0xffffff                               // 000000004194: 8652FF52 00FFFFFF
	s_mul_i32 s82, s82, s71                                    // 00000000419C: 92524752
	s_mul_i32 s61, s60, s61                                    // 0000000041A0: 923D3D3C
	s_add_u32 s82, s82, s61                                    // 0000000041A4: 80523D52
	v_mul_lo_u32 v6, v5, s82                                   // 0000000041A8: D2850006 0000A505
	v_readlane_b32 s82, v3, 13                                 // 0000000041B0: D2890052 00011B03
	s_lshr_b32 s61, s82, 24                                    // 0000000041B8: 8F3D9852
	s_and_b32 s82, s82, 0xffffff                               // 0000000041BC: 8652FF52 00FFFFFF
	s_mul_i32 s82, s82, s71                                    // 0000000041C4: 92524752
	s_mul_i32 s61, s60, s61                                    // 0000000041C8: 923D3D3C
	s_add_u32 s82, s82, s61                                    // 0000000041CC: 80523D52
	v_mul_lo_u32 v7, v4, s82                                   // 0000000041D0: D2850007 0000A504
	v_add_u32_e32 v50, v6, v7                                  // 0000000041D8: 68640F06
	v_readlane_b32 s82, v3, 14                                 // 0000000041DC: D2890052 00011D03
	s_lshr_b32 s61, s82, 24                                    // 0000000041E4: 8F3D9852
	s_and_b32 s82, s82, 0xffffff                               // 0000000041E8: 8652FF52 00FFFFFF
	s_mul_i32 s82, s82, s71                                    // 0000000041F0: 92524752
	s_mul_i32 s61, s60, s61                                    // 0000000041F4: 923D3D3C
	s_add_u32 s82, s82, s61                                    // 0000000041F8: 80523D52
	v_mul_lo_u32 v6, v5, s82                                   // 0000000041FC: D2850006 0000A505
	v_readlane_b32 s82, v3, 15                                 // 000000004204: D2890052 00011F03
	s_lshr_b32 s61, s82, 24                                    // 00000000420C: 8F3D9852
	s_and_b32 s82, s82, 0xffffff                               // 000000004210: 8652FF52 00FFFFFF
	s_mul_i32 s82, s82, s71                                    // 000000004218: 92524752
	s_mul_i32 s61, s60, s61                                    // 00000000421C: 923D3D3C
	s_add_u32 s82, s82, s61                                    // 000000004220: 80523D52
	v_mul_lo_u32 v7, v4, s82                                   // 000000004224: D2850007 0000A504
	v_add_u32_e32 v51, v6, v7                                  // 00000000422C: 68660F06
	v_and_b32_e32 v4, 31, v0                                   // 000000004230: 2608009F
	v_lshrrev_b32_e32 v4, 1, v4                                // 000000004234: 20080881
	s_cmp_eq_u32 s88, 0                                        // 000000004238: BF068058
	s_cselect_b32 s61, 2, 4                                    // 00000000423C: 853D8482
	v_mul_lo_u32 v4, v4, s61                                   // 000000004240: D2850004 00007B04
	v_and_b32_e64 v5, v0, 1                                    // 000000004248: D1130005 00010300
	v_add_u32_e32 v4, v4, v5                                   // 000000004250: 68080B04
	v_lshlrev_b32_e32 v4, 2, v4                                // 000000004254: 24080882
	v_add_u32_e32 v44, v44, v4                                 // 000000004258: 6858092C
	v_add_u32_e32 v45, v45, v4                                 // 00000000425C: 685A092D
	v_add_u32_e32 v46, v46, v4                                 // 000000004260: 685C092E
	v_add_u32_e32 v47, v47, v4                                 // 000000004264: 685E092F
	v_add_u32_e32 v48, v48, v4                                 // 000000004268: 68600930
	v_add_u32_e32 v49, v49, v4                                 // 00000000426C: 68620931
	v_add_u32_e32 v50, v50, v4                                 // 000000004270: 68640932
	v_add_u32_e32 v51, v51, v4                                 // 000000004274: 68660933
	s_waitcnt lgkmcnt(0)                                       // 000000004278: BF8CC07F
	s_barrier                                                  // 00000000427C: BF8A0000
	ds_read_b32 v56, v21                                       // 000000004280: D86C0000 38000015
	ds_read_b32 v57, v21 offset:64                             // 000000004288: D86C0040 39000015
	ds_read_b32 v58, v21 offset:2176                           // 000000004290: D86C0880 3A000015
	ds_read_b32 v59, v21 offset:2240                           // 000000004298: D86C08C0 3B000015
	ds_read_b32 v60, v21 offset:4352                           // 0000000042A0: D86C1100 3C000015
	ds_read_b32 v61, v21 offset:4416                           // 0000000042A8: D86C1140 3D000015
	ds_read_b32 v62, v21 offset:6528                           // 0000000042B0: D86C1980 3E000015
	ds_read_b32 v63, v21 offset:6592                           // 0000000042B8: D86C19C0 3F000015
	s_waitcnt lgkmcnt(0)                                       // 0000000042C0: BF8CC07F
	s_mov_b32 s36, -1                                          // 0000000042C4: BEA400C1
	s_mov_b32 s37, -1                                          // 0000000042C8: BEA500C1
	v_mov_b32_e32 v7, 0                                        // 0000000042CC: 7E0E0280
	s_or_b32 s9, s9, 0x40000                                   // 0000000042D0: 8709FF09 00040000
	s_mov_b64 exec, s[36:37]                                   // 0000000042D8: BEFE0124
	v_mov_b32_e32 v6, v44                                      // 0000000042DC: 7E0C032C
	s_mov_b64 s[60:61], 0                                      // 0000000042E0: BEBC0180
	v_readlane_b32 s82, v3, 0                                  // 0000000042E4: D2890052 00010103
	s_and_b32 s82, s82, 0xffffff                               // 0000000042EC: 8652FF52 00FFFFFF
	s_cmp_lt_u32 s82, s66                                      // 0000000042F4: BF0A4252
	s_cselect_b32 s20, s36, s60                                // 0000000042F8: 85143C24
	v_readlane_b32 s82, v3, 1                                  // 0000000042FC: D2890052 00010303
	s_and_b32 s82, s82, 0xffffff                               // 000000004304: 8652FF52 00FFFFFF
	s_cmp_lt_u32 s82, s66                                      // 00000000430C: BF0A4252
	s_cselect_b32 s21, s36, s60                                // 000000004310: 85153C24
	s_mov_b64 exec, s[20:21]                                   // 000000004314: BEFE0114
	buffer_store_dword v56, v6, s[8:11], 0 offen               // 000000004318: E0701000 80023806
	s_mov_b64 exec, s[36:37]                                   // 000000004320: BEFE0124
	v_mov_b32_e32 v6, v45                                      // 000000004324: 7E0C032D
	s_mov_b64 s[60:61], 0                                      // 000000004328: BEBC0180
	v_readlane_b32 s82, v3, 2                                  // 00000000432C: D2890052 00010503
	s_and_b32 s82, s82, 0xffffff                               // 000000004334: 8652FF52 00FFFFFF
	s_cmp_lt_u32 s82, s66                                      // 00000000433C: BF0A4252
	s_cselect_b32 s20, s36, s60                                // 000000004340: 85143C24
	v_readlane_b32 s82, v3, 3                                  // 000000004344: D2890052 00010703
	s_and_b32 s82, s82, 0xffffff                               // 00000000434C: 8652FF52 00FFFFFF
	s_cmp_lt_u32 s82, s66                                      // 000000004354: BF0A4252
	s_cselect_b32 s21, s36, s60                                // 000000004358: 85153C24
	s_mov_b64 exec, s[20:21]                                   // 00000000435C: BEFE0114
	buffer_store_dword v57, v6, s[8:11], 0 offen               // 000000004360: E0701000 80023906
	s_mov_b64 exec, s[36:37]                                   // 000000004368: BEFE0124
	v_mov_b32_e32 v6, v46                                      // 00000000436C: 7E0C032E
	s_mov_b64 s[60:61], 0                                      // 000000004370: BEBC0180
	v_readlane_b32 s82, v3, 4                                  // 000000004374: D2890052 00010903
	s_and_b32 s82, s82, 0xffffff                               // 00000000437C: 8652FF52 00FFFFFF
	s_cmp_lt_u32 s82, s66                                      // 000000004384: BF0A4252
	s_cselect_b32 s20, s36, s60                                // 000000004388: 85143C24
	v_readlane_b32 s82, v3, 5                                  // 00000000438C: D2890052 00010B03
	s_and_b32 s82, s82, 0xffffff                               // 000000004394: 8652FF52 00FFFFFF
	s_cmp_lt_u32 s82, s66                                      // 00000000439C: BF0A4252
	s_cselect_b32 s21, s36, s60                                // 0000000043A0: 85153C24
	s_mov_b64 exec, s[20:21]                                   // 0000000043A4: BEFE0114
	buffer_store_dword v58, v6, s[8:11], 0 offen               // 0000000043A8: E0701000 80023A06
	s_mov_b64 exec, s[36:37]                                   // 0000000043B0: BEFE0124
	v_mov_b32_e32 v6, v47                                      // 0000000043B4: 7E0C032F
	s_mov_b64 s[60:61], 0                                      // 0000000043B8: BEBC0180
	v_readlane_b32 s82, v3, 6                                  // 0000000043BC: D2890052 00010D03
	s_and_b32 s82, s82, 0xffffff                               // 0000000043C4: 8652FF52 00FFFFFF
	s_cmp_lt_u32 s82, s66                                      // 0000000043CC: BF0A4252
	s_cselect_b32 s20, s36, s60                                // 0000000043D0: 85143C24
	v_readlane_b32 s82, v3, 7                                  // 0000000043D4: D2890052 00010F03
	s_and_b32 s82, s82, 0xffffff                               // 0000000043DC: 8652FF52 00FFFFFF
	s_cmp_lt_u32 s82, s66                                      // 0000000043E4: BF0A4252
	s_cselect_b32 s21, s36, s60                                // 0000000043E8: 85153C24
	s_mov_b64 exec, s[20:21]                                   // 0000000043EC: BEFE0114
	buffer_store_dword v59, v6, s[8:11], 0 offen               // 0000000043F0: E0701000 80023B06
	s_mov_b64 exec, s[36:37]                                   // 0000000043F8: BEFE0124
	v_mov_b32_e32 v6, v48                                      // 0000000043FC: 7E0C0330
	s_mov_b64 s[60:61], 0                                      // 000000004400: BEBC0180
	v_readlane_b32 s82, v3, 8                                  // 000000004404: D2890052 00011103
	s_and_b32 s82, s82, 0xffffff                               // 00000000440C: 8652FF52 00FFFFFF
	s_cmp_lt_u32 s82, s66                                      // 000000004414: BF0A4252
	s_cselect_b32 s20, s36, s60                                // 000000004418: 85143C24
	v_readlane_b32 s82, v3, 9                                  // 00000000441C: D2890052 00011303
	s_and_b32 s82, s82, 0xffffff                               // 000000004424: 8652FF52 00FFFFFF
	s_cmp_lt_u32 s82, s66                                      // 00000000442C: BF0A4252
	s_cselect_b32 s21, s36, s60                                // 000000004430: 85153C24
	s_mov_b64 exec, s[20:21]                                   // 000000004434: BEFE0114
	buffer_store_dword v60, v6, s[8:11], 0 offen               // 000000004438: E0701000 80023C06
	s_mov_b64 exec, s[36:37]                                   // 000000004440: BEFE0124
	v_mov_b32_e32 v6, v49                                      // 000000004444: 7E0C0331
	s_mov_b64 s[60:61], 0                                      // 000000004448: BEBC0180
	v_readlane_b32 s82, v3, 10                                 // 00000000444C: D2890052 00011503
	s_and_b32 s82, s82, 0xffffff                               // 000000004454: 8652FF52 00FFFFFF
	s_cmp_lt_u32 s82, s66                                      // 00000000445C: BF0A4252
	s_cselect_b32 s20, s36, s60                                // 000000004460: 85143C24
	v_readlane_b32 s82, v3, 11                                 // 000000004464: D2890052 00011703
	s_and_b32 s82, s82, 0xffffff                               // 00000000446C: 8652FF52 00FFFFFF
	s_cmp_lt_u32 s82, s66                                      // 000000004474: BF0A4252
	s_cselect_b32 s21, s36, s60                                // 000000004478: 85153C24
	s_mov_b64 exec, s[20:21]                                   // 00000000447C: BEFE0114
	buffer_store_dword v61, v6, s[8:11], 0 offen               // 000000004480: E0701000 80023D06
	s_mov_b64 exec, s[36:37]                                   // 000000004488: BEFE0124
	v_mov_b32_e32 v6, v50                                      // 00000000448C: 7E0C0332
	s_mov_b64 s[60:61], 0                                      // 000000004490: BEBC0180
	v_readlane_b32 s82, v3, 12                                 // 000000004494: D2890052 00011903
	s_and_b32 s82, s82, 0xffffff                               // 00000000449C: 8652FF52 00FFFFFF
	s_cmp_lt_u32 s82, s66                                      // 0000000044A4: BF0A4252
	s_cselect_b32 s20, s36, s60                                // 0000000044A8: 85143C24
	v_readlane_b32 s82, v3, 13                                 // 0000000044AC: D2890052 00011B03
	s_and_b32 s82, s82, 0xffffff                               // 0000000044B4: 8652FF52 00FFFFFF
	s_cmp_lt_u32 s82, s66                                      // 0000000044BC: BF0A4252
	s_cselect_b32 s21, s36, s60                                // 0000000044C0: 85153C24
	s_mov_b64 exec, s[20:21]                                   // 0000000044C4: BEFE0114
	buffer_store_dword v62, v6, s[8:11], 0 offen               // 0000000044C8: E0701000 80023E06
	s_mov_b64 exec, s[36:37]                                   // 0000000044D0: BEFE0124
	v_mov_b32_e32 v6, v51                                      // 0000000044D4: 7E0C0333
	s_mov_b64 s[60:61], 0                                      // 0000000044D8: BEBC0180
	v_readlane_b32 s82, v3, 14                                 // 0000000044DC: D2890052 00011D03
	s_and_b32 s82, s82, 0xffffff                               // 0000000044E4: 8652FF52 00FFFFFF
	s_cmp_lt_u32 s82, s66                                      // 0000000044EC: BF0A4252
	s_cselect_b32 s20, s36, s60                                // 0000000044F0: 85143C24
	v_readlane_b32 s82, v3, 15                                 // 0000000044F4: D2890052 00011F03
	s_and_b32 s82, s82, 0xffffff                               // 0000000044FC: 8652FF52 00FFFFFF
	s_cmp_lt_u32 s82, s66                                      // 000000004504: BF0A4252
	s_cselect_b32 s21, s36, s60                                // 000000004508: 85153C24
	s_mov_b64 exec, s[20:21]                                   // 00000000450C: BEFE0114
	buffer_store_dword v63, v6, s[8:11], 0 offen               // 000000004510: E0701000 80023F06
	s_mov_b64 exec, s[36:37]                                   // 000000004518: BEFE0124
	s_branch label_1251                                        // 00000000451C: BF820B86

0000000000004520 <label_06C8>:
	ds_write_b64 v20, v[56:57]                                 // 000000004520: D89A0000 00003814
	ds_write_b64 v20, v[60:61] offset:2176                     // 000000004528: D89A0880 00003C14
	ds_write_b64 v20, v[64:65] offset:4352                     // 000000004530: D89A1100 00004014
	ds_write_b64 v20, v[68:69] offset:6528                     // 000000004538: D89A1980 00004414
	v_lshrrev_b32_e32 v4, 5, v0                                // 000000004540: 20080085
	v_xor_b32_e32 v5, 1, v4                                    // 000000004544: 2A0A0881
	s_mul_i32 s60, s65, 2                                      // 000000004548: 923C8241
	s_cmp_eq_u32 s88, 0                                        // 00000000454C: BF068058
	s_cselect_b32 s61, 1, 4                                    // 000000004550: 853D8481
	s_mul_i32 s60, s61, s60                                    // 000000004554: 923C3C3D
	v_readlane_b32 s82, v3, 0                                  // 000000004558: D2890052 00010103
	s_lshr_b32 s61, s82, 24                                    // 000000004560: 8F3D9852
	s_and_b32 s82, s82, 0xffffff                               // 000000004564: 8652FF52 00FFFFFF
	s_mul_i32 s82, s82, s71                                    // 00000000456C: 92524752
	s_mul_i32 s61, s60, s61                                    // 000000004570: 923D3D3C
	s_add_u32 s82, s82, s61                                    // 000000004574: 80523D52
	v_mul_lo_u32 v6, v5, s82                                   // 000000004578: D2850006 0000A505
	v_readlane_b32 s82, v3, 1                                  // 000000004580: D2890052 00010303
	s_lshr_b32 s61, s82, 24                                    // 000000004588: 8F3D9852
	s_and_b32 s82, s82, 0xffffff                               // 00000000458C: 8652FF52 00FFFFFF
	s_mul_i32 s82, s82, s71                                    // 000000004594: 92524752
	s_mul_i32 s61, s60, s61                                    // 000000004598: 923D3D3C
	s_add_u32 s82, s82, s61                                    // 00000000459C: 80523D52
	v_mul_lo_u32 v7, v4, s82                                   // 0000000045A0: D2850007 0000A504
	v_add_u32_e32 v44, v6, v7                                  // 0000000045A8: 68580F06
	v_readlane_b32 s82, v3, 2                                  // 0000000045AC: D2890052 00010503
	s_lshr_b32 s61, s82, 24                                    // 0000000045B4: 8F3D9852
	s_and_b32 s82, s82, 0xffffff                               // 0000000045B8: 8652FF52 00FFFFFF
	s_mul_i32 s82, s82, s71                                    // 0000000045C0: 92524752
	s_mul_i32 s61, s60, s61                                    // 0000000045C4: 923D3D3C
	s_add_u32 s82, s82, s61                                    // 0000000045C8: 80523D52
	v_mul_lo_u32 v6, v5, s82                                   // 0000000045CC: D2850006 0000A505
	v_readlane_b32 s82, v3, 3                                  // 0000000045D4: D2890052 00010703
	s_lshr_b32 s61, s82, 24                                    // 0000000045DC: 8F3D9852
	s_and_b32 s82, s82, 0xffffff                               // 0000000045E0: 8652FF52 00FFFFFF
	s_mul_i32 s82, s82, s71                                    // 0000000045E8: 92524752
	s_mul_i32 s61, s60, s61                                    // 0000000045EC: 923D3D3C
	s_add_u32 s82, s82, s61                                    // 0000000045F0: 80523D52
	v_mul_lo_u32 v7, v4, s82                                   // 0000000045F4: D2850007 0000A504
	v_add_u32_e32 v45, v6, v7                                  // 0000000045FC: 685A0F06
	v_readlane_b32 s82, v3, 4                                  // 000000004600: D2890052 00010903
	s_lshr_b32 s61, s82, 24                                    // 000000004608: 8F3D9852
	s_and_b32 s82, s82, 0xffffff                               // 00000000460C: 8652FF52 00FFFFFF
	s_mul_i32 s82, s82, s71                                    // 000000004614: 92524752
	s_mul_i32 s61, s60, s61                                    // 000000004618: 923D3D3C
	s_add_u32 s82, s82, s61                                    // 00000000461C: 80523D52
	v_mul_lo_u32 v6, v5, s82                                   // 000000004620: D2850006 0000A505
	v_readlane_b32 s82, v3, 5                                  // 000000004628: D2890052 00010B03
	s_lshr_b32 s61, s82, 24                                    // 000000004630: 8F3D9852
	s_and_b32 s82, s82, 0xffffff                               // 000000004634: 8652FF52 00FFFFFF
	s_mul_i32 s82, s82, s71                                    // 00000000463C: 92524752
	s_mul_i32 s61, s60, s61                                    // 000000004640: 923D3D3C
	s_add_u32 s82, s82, s61                                    // 000000004644: 80523D52
	v_mul_lo_u32 v7, v4, s82                                   // 000000004648: D2850007 0000A504
	v_add_u32_e32 v46, v6, v7                                  // 000000004650: 685C0F06
	v_readlane_b32 s82, v3, 6                                  // 000000004654: D2890052 00010D03
	s_lshr_b32 s61, s82, 24                                    // 00000000465C: 8F3D9852
	s_and_b32 s82, s82, 0xffffff                               // 000000004660: 8652FF52 00FFFFFF
	s_mul_i32 s82, s82, s71                                    // 000000004668: 92524752
	s_mul_i32 s61, s60, s61                                    // 00000000466C: 923D3D3C
	s_add_u32 s82, s82, s61                                    // 000000004670: 80523D52
	v_mul_lo_u32 v6, v5, s82                                   // 000000004674: D2850006 0000A505
	v_readlane_b32 s82, v3, 7                                  // 00000000467C: D2890052 00010F03
	s_lshr_b32 s61, s82, 24                                    // 000000004684: 8F3D9852
	s_and_b32 s82, s82, 0xffffff                               // 000000004688: 8652FF52 00FFFFFF
	s_mul_i32 s82, s82, s71                                    // 000000004690: 92524752
	s_mul_i32 s61, s60, s61                                    // 000000004694: 923D3D3C
	s_add_u32 s82, s82, s61                                    // 000000004698: 80523D52
	v_mul_lo_u32 v7, v4, s82                                   // 00000000469C: D2850007 0000A504
	v_add_u32_e32 v47, v6, v7                                  // 0000000046A4: 685E0F06
	v_readlane_b32 s82, v3, 8                                  // 0000000046A8: D2890052 00011103
	s_lshr_b32 s61, s82, 24                                    // 0000000046B0: 8F3D9852
	s_and_b32 s82, s82, 0xffffff                               // 0000000046B4: 8652FF52 00FFFFFF
	s_mul_i32 s82, s82, s71                                    // 0000000046BC: 92524752
	s_mul_i32 s61, s60, s61                                    // 0000000046C0: 923D3D3C
	s_add_u32 s82, s82, s61                                    // 0000000046C4: 80523D52
	v_mul_lo_u32 v6, v5, s82                                   // 0000000046C8: D2850006 0000A505
	v_readlane_b32 s82, v3, 9                                  // 0000000046D0: D2890052 00011303
	s_lshr_b32 s61, s82, 24                                    // 0000000046D8: 8F3D9852
	s_and_b32 s82, s82, 0xffffff                               // 0000000046DC: 8652FF52 00FFFFFF
	s_mul_i32 s82, s82, s71                                    // 0000000046E4: 92524752
	s_mul_i32 s61, s60, s61                                    // 0000000046E8: 923D3D3C
	s_add_u32 s82, s82, s61                                    // 0000000046EC: 80523D52
	v_mul_lo_u32 v7, v4, s82                                   // 0000000046F0: D2850007 0000A504
	v_add_u32_e32 v48, v6, v7                                  // 0000000046F8: 68600F06
	v_readlane_b32 s82, v3, 10                                 // 0000000046FC: D2890052 00011503
	s_lshr_b32 s61, s82, 24                                    // 000000004704: 8F3D9852
	s_and_b32 s82, s82, 0xffffff                               // 000000004708: 8652FF52 00FFFFFF
	s_mul_i32 s82, s82, s71                                    // 000000004710: 92524752
	s_mul_i32 s61, s60, s61                                    // 000000004714: 923D3D3C
	s_add_u32 s82, s82, s61                                    // 000000004718: 80523D52
	v_mul_lo_u32 v6, v5, s82                                   // 00000000471C: D2850006 0000A505
	v_readlane_b32 s82, v3, 11                                 // 000000004724: D2890052 00011703
	s_lshr_b32 s61, s82, 24                                    // 00000000472C: 8F3D9852
	s_and_b32 s82, s82, 0xffffff                               // 000000004730: 8652FF52 00FFFFFF
	s_mul_i32 s82, s82, s71                                    // 000000004738: 92524752
	s_mul_i32 s61, s60, s61                                    // 00000000473C: 923D3D3C
	s_add_u32 s82, s82, s61                                    // 000000004740: 80523D52
	v_mul_lo_u32 v7, v4, s82                                   // 000000004744: D2850007 0000A504
	v_add_u32_e32 v49, v6, v7                                  // 00000000474C: 68620F06
	v_readlane_b32 s82, v3, 12                                 // 000000004750: D2890052 00011903
	s_lshr_b32 s61, s82, 24                                    // 000000004758: 8F3D9852
	s_and_b32 s82, s82, 0xffffff                               // 00000000475C: 8652FF52 00FFFFFF
	s_mul_i32 s82, s82, s71                                    // 000000004764: 92524752
	s_mul_i32 s61, s60, s61                                    // 000000004768: 923D3D3C
	s_add_u32 s82, s82, s61                                    // 00000000476C: 80523D52
	v_mul_lo_u32 v6, v5, s82                                   // 000000004770: D2850006 0000A505
	v_readlane_b32 s82, v3, 13                                 // 000000004778: D2890052 00011B03
	s_lshr_b32 s61, s82, 24                                    // 000000004780: 8F3D9852
	s_and_b32 s82, s82, 0xffffff                               // 000000004784: 8652FF52 00FFFFFF
	s_mul_i32 s82, s82, s71                                    // 00000000478C: 92524752
	s_mul_i32 s61, s60, s61                                    // 000000004790: 923D3D3C
	s_add_u32 s82, s82, s61                                    // 000000004794: 80523D52
	v_mul_lo_u32 v7, v4, s82                                   // 000000004798: D2850007 0000A504
	v_add_u32_e32 v50, v6, v7                                  // 0000000047A0: 68640F06
	v_readlane_b32 s82, v3, 14                                 // 0000000047A4: D2890052 00011D03
	s_lshr_b32 s61, s82, 24                                    // 0000000047AC: 8F3D9852
	s_and_b32 s82, s82, 0xffffff                               // 0000000047B0: 8652FF52 00FFFFFF
	s_mul_i32 s82, s82, s71                                    // 0000000047B8: 92524752
	s_mul_i32 s61, s60, s61                                    // 0000000047BC: 923D3D3C
	s_add_u32 s82, s82, s61                                    // 0000000047C0: 80523D52
	v_mul_lo_u32 v6, v5, s82                                   // 0000000047C4: D2850006 0000A505
	v_readlane_b32 s82, v3, 15                                 // 0000000047CC: D2890052 00011F03
	s_lshr_b32 s61, s82, 24                                    // 0000000047D4: 8F3D9852
	s_and_b32 s82, s82, 0xffffff                               // 0000000047D8: 8652FF52 00FFFFFF
	s_mul_i32 s82, s82, s71                                    // 0000000047E0: 92524752
	s_mul_i32 s61, s60, s61                                    // 0000000047E4: 923D3D3C
	s_add_u32 s82, s82, s61                                    // 0000000047E8: 80523D52
	v_mul_lo_u32 v7, v4, s82                                   // 0000000047EC: D2850007 0000A504
	v_add_u32_e32 v51, v6, v7                                  // 0000000047F4: 68660F06
	v_and_b32_e32 v4, 31, v0                                   // 0000000047F8: 2608009F
	v_lshrrev_b32_e32 v4, 1, v4                                // 0000000047FC: 20080881
	s_cmp_eq_u32 s88, 0                                        // 000000004800: BF068058
	s_cselect_b32 s61, 2, 4                                    // 000000004804: 853D8482
	v_mul_lo_u32 v4, v4, s61                                   // 000000004808: D2850004 00007B04
	v_and_b32_e64 v5, v0, 1                                    // 000000004810: D1130005 00010300
	v_add_u32_e32 v4, v4, v5                                   // 000000004818: 68080B04
	v_lshlrev_b32_e32 v4, 2, v4                                // 00000000481C: 24080882
	v_add_u32_e32 v44, v44, v4                                 // 000000004820: 6858092C
	v_add_u32_e32 v45, v45, v4                                 // 000000004824: 685A092D
	v_add_u32_e32 v46, v46, v4                                 // 000000004828: 685C092E
	v_add_u32_e32 v47, v47, v4                                 // 00000000482C: 685E092F
	v_add_u32_e32 v48, v48, v4                                 // 000000004830: 68600930
	v_add_u32_e32 v49, v49, v4                                 // 000000004834: 68620931
	;; [unrolled: 1-line block ×3, first 2 shown]
	v_add_u32_e32 v51, v51, v4                                 // 00000000483C: 68660933
	s_waitcnt lgkmcnt(0)                                       // 000000004840: BF8CC07F
	s_barrier                                                  // 000000004844: BF8A0000
	ds_read_b32 v56, v21                                       // 000000004848: D86C0000 38000015
	ds_read_b32 v57, v21 offset:64                             // 000000004850: D86C0040 39000015
	ds_read_b32 v60, v21 offset:2176                           // 000000004858: D86C0880 3C000015
	ds_read_b32 v61, v21 offset:2240                           // 000000004860: D86C08C0 3D000015
	ds_read_b32 v64, v21 offset:4352                           // 000000004868: D86C1100 40000015
	ds_read_b32 v65, v21 offset:4416                           // 000000004870: D86C1140 41000015
	ds_read_b32 v68, v21 offset:6528                           // 000000004878: D86C1980 44000015
	ds_read_b32 v69, v21 offset:6592                           // 000000004880: D86C19C0 45000015
	s_waitcnt lgkmcnt(0)                                       // 000000004888: BF8CC07F
	s_mov_b32 s36, -1                                          // 00000000488C: BEA400C1
	s_mov_b32 s37, -1                                          // 000000004890: BEA500C1
	v_mov_b32_e32 v7, 0                                        // 000000004894: 7E0E0280
	s_mov_b64 exec, s[36:37]                                   // 000000004898: BEFE0124
	v_mov_b32_e32 v6, v44                                      // 00000000489C: 7E0C032C
	s_mov_b64 s[60:61], 0                                      // 0000000048A0: BEBC0180
	v_readlane_b32 s82, v3, 0                                  // 0000000048A4: D2890052 00010103
	s_and_b32 s82, s82, 0xffffff                               // 0000000048AC: 8652FF52 00FFFFFF
	s_cmp_lt_u32 s82, s66                                      // 0000000048B4: BF0A4252
	s_cselect_b32 s20, s36, s60                                // 0000000048B8: 85143C24
	v_readlane_b32 s82, v3, 1                                  // 0000000048BC: D2890052 00010303
	s_and_b32 s82, s82, 0xffffff                               // 0000000048C4: 8652FF52 00FFFFFF
	s_cmp_lt_u32 s82, s66                                      // 0000000048CC: BF0A4252
	s_cselect_b32 s21, s36, s60                                // 0000000048D0: 85153C24
	s_mov_b64 exec, s[20:21]                                   // 0000000048D4: BEFE0114
	global_atomic_add_f32 v6, v56, s[8:9]                      // 0000000048D8: DD348000 00083806
	s_mov_b64 exec, s[36:37]                                   // 0000000048E0: BEFE0124
	v_mov_b32_e32 v6, v45                                      // 0000000048E4: 7E0C032D
	s_mov_b64 s[60:61], 0                                      // 0000000048E8: BEBC0180
	v_readlane_b32 s82, v3, 2                                  // 0000000048EC: D2890052 00010503
	s_and_b32 s82, s82, 0xffffff                               // 0000000048F4: 8652FF52 00FFFFFF
	s_cmp_lt_u32 s82, s66                                      // 0000000048FC: BF0A4252
	s_cselect_b32 s20, s36, s60                                // 000000004900: 85143C24
	v_readlane_b32 s82, v3, 3                                  // 000000004904: D2890052 00010703
	s_and_b32 s82, s82, 0xffffff                               // 00000000490C: 8652FF52 00FFFFFF
	s_cmp_lt_u32 s82, s66                                      // 000000004914: BF0A4252
	s_cselect_b32 s21, s36, s60                                // 000000004918: 85153C24
	s_mov_b64 exec, s[20:21]                                   // 00000000491C: BEFE0114
	global_atomic_add_f32 v6, v57, s[8:9]                      // 000000004920: DD348000 00083906
	s_mov_b64 exec, s[36:37]                                   // 000000004928: BEFE0124
	v_mov_b32_e32 v6, v46                                      // 00000000492C: 7E0C032E
	s_mov_b64 s[60:61], 0                                      // 000000004930: BEBC0180
	v_readlane_b32 s82, v3, 4                                  // 000000004934: D2890052 00010903
	s_and_b32 s82, s82, 0xffffff                               // 00000000493C: 8652FF52 00FFFFFF
	s_cmp_lt_u32 s82, s66                                      // 000000004944: BF0A4252
	s_cselect_b32 s20, s36, s60                                // 000000004948: 85143C24
	v_readlane_b32 s82, v3, 5                                  // 00000000494C: D2890052 00010B03
	s_and_b32 s82, s82, 0xffffff                               // 000000004954: 8652FF52 00FFFFFF
	s_cmp_lt_u32 s82, s66                                      // 00000000495C: BF0A4252
	s_cselect_b32 s21, s36, s60                                // 000000004960: 85153C24
	s_mov_b64 exec, s[20:21]                                   // 000000004964: BEFE0114
	global_atomic_add_f32 v6, v60, s[8:9]                      // 000000004968: DD348000 00083C06
	s_mov_b64 exec, s[36:37]                                   // 000000004970: BEFE0124
	v_mov_b32_e32 v6, v47                                      // 000000004974: 7E0C032F
	s_mov_b64 s[60:61], 0                                      // 000000004978: BEBC0180
	v_readlane_b32 s82, v3, 6                                  // 00000000497C: D2890052 00010D03
	s_and_b32 s82, s82, 0xffffff                               // 000000004984: 8652FF52 00FFFFFF
	s_cmp_lt_u32 s82, s66                                      // 00000000498C: BF0A4252
	s_cselect_b32 s20, s36, s60                                // 000000004990: 85143C24
	v_readlane_b32 s82, v3, 7                                  // 000000004994: D2890052 00010F03
	s_and_b32 s82, s82, 0xffffff                               // 00000000499C: 8652FF52 00FFFFFF
	s_cmp_lt_u32 s82, s66                                      // 0000000049A4: BF0A4252
	s_cselect_b32 s21, s36, s60                                // 0000000049A8: 85153C24
	s_mov_b64 exec, s[20:21]                                   // 0000000049AC: BEFE0114
	global_atomic_add_f32 v6, v61, s[8:9]                      // 0000000049B0: DD348000 00083D06
	s_mov_b64 exec, s[36:37]                                   // 0000000049B8: BEFE0124
	v_mov_b32_e32 v6, v48                                      // 0000000049BC: 7E0C0330
	s_mov_b64 s[60:61], 0                                      // 0000000049C0: BEBC0180
	v_readlane_b32 s82, v3, 8                                  // 0000000049C4: D2890052 00011103
	s_and_b32 s82, s82, 0xffffff                               // 0000000049CC: 8652FF52 00FFFFFF
	s_cmp_lt_u32 s82, s66                                      // 0000000049D4: BF0A4252
	s_cselect_b32 s20, s36, s60                                // 0000000049D8: 85143C24
	v_readlane_b32 s82, v3, 9                                  // 0000000049DC: D2890052 00011303
	s_and_b32 s82, s82, 0xffffff                               // 0000000049E4: 8652FF52 00FFFFFF
	s_cmp_lt_u32 s82, s66                                      // 0000000049EC: BF0A4252
	s_cselect_b32 s21, s36, s60                                // 0000000049F0: 85153C24
	s_mov_b64 exec, s[20:21]                                   // 0000000049F4: BEFE0114
	global_atomic_add_f32 v6, v64, s[8:9]                      // 0000000049F8: DD348000 00084006
	s_mov_b64 exec, s[36:37]                                   // 000000004A00: BEFE0124
	v_mov_b32_e32 v6, v49                                      // 000000004A04: 7E0C0331
	s_mov_b64 s[60:61], 0                                      // 000000004A08: BEBC0180
	v_readlane_b32 s82, v3, 10                                 // 000000004A0C: D2890052 00011503
	s_and_b32 s82, s82, 0xffffff                               // 000000004A14: 8652FF52 00FFFFFF
	s_cmp_lt_u32 s82, s66                                      // 000000004A1C: BF0A4252
	s_cselect_b32 s20, s36, s60                                // 000000004A20: 85143C24
	v_readlane_b32 s82, v3, 11                                 // 000000004A24: D2890052 00011703
	s_and_b32 s82, s82, 0xffffff                               // 000000004A2C: 8652FF52 00FFFFFF
	s_cmp_lt_u32 s82, s66                                      // 000000004A34: BF0A4252
	s_cselect_b32 s21, s36, s60                                // 000000004A38: 85153C24
	s_mov_b64 exec, s[20:21]                                   // 000000004A3C: BEFE0114
	global_atomic_add_f32 v6, v65, s[8:9]                      // 000000004A40: DD348000 00084106
	s_mov_b64 exec, s[36:37]                                   // 000000004A48: BEFE0124
	v_mov_b32_e32 v6, v50                                      // 000000004A4C: 7E0C0332
	s_mov_b64 s[60:61], 0                                      // 000000004A50: BEBC0180
	v_readlane_b32 s82, v3, 12                                 // 000000004A54: D2890052 00011903
	s_and_b32 s82, s82, 0xffffff                               // 000000004A5C: 8652FF52 00FFFFFF
	s_cmp_lt_u32 s82, s66                                      // 000000004A64: BF0A4252
	s_cselect_b32 s20, s36, s60                                // 000000004A68: 85143C24
	v_readlane_b32 s82, v3, 13                                 // 000000004A6C: D2890052 00011B03
	s_and_b32 s82, s82, 0xffffff                               // 000000004A74: 8652FF52 00FFFFFF
	s_cmp_lt_u32 s82, s66                                      // 000000004A7C: BF0A4252
	s_cselect_b32 s21, s36, s60                                // 000000004A80: 85153C24
	s_mov_b64 exec, s[20:21]                                   // 000000004A84: BEFE0114
	global_atomic_add_f32 v6, v68, s[8:9]                      // 000000004A88: DD348000 00084406
	s_mov_b64 exec, s[36:37]                                   // 000000004A90: BEFE0124
	v_mov_b32_e32 v6, v51                                      // 000000004A94: 7E0C0333
	s_mov_b64 s[60:61], 0                                      // 000000004A98: BEBC0180
	v_readlane_b32 s82, v3, 14                                 // 000000004A9C: D2890052 00011D03
	s_and_b32 s82, s82, 0xffffff                               // 000000004AA4: 8652FF52 00FFFFFF
	s_cmp_lt_u32 s82, s66                                      // 000000004AAC: BF0A4252
	s_cselect_b32 s20, s36, s60                                // 000000004AB0: 85143C24
	v_readlane_b32 s82, v3, 15                                 // 000000004AB4: D2890052 00011F03
	s_and_b32 s82, s82, 0xffffff                               // 000000004ABC: 8652FF52 00FFFFFF
	s_cmp_lt_u32 s82, s66                                      // 000000004AC4: BF0A4252
	s_cselect_b32 s21, s36, s60                                // 000000004AC8: 85153C24
	s_mov_b64 exec, s[20:21]                                   // 000000004ACC: BEFE0114
	global_atomic_add_f32 v6, v69, s[8:9]                      // 000000004AD0: DD348000 00084506
	s_mov_b64 exec, s[36:37]                                   // 000000004AD8: BEFE0124
	ds_write_b64 v20, v[58:59]                                 // 000000004ADC: D89A0000 00003A14
	ds_write_b64 v20, v[62:63] offset:2176                     // 000000004AE4: D89A0880 00003E14
	ds_write_b64 v20, v[66:67] offset:4352                     // 000000004AEC: D89A1100 00004214
	ds_write_b64 v20, v[70:71] offset:6528                     // 000000004AF4: D89A1980 00004614
	s_waitcnt lgkmcnt(0)                                       // 000000004AFC: BF8CC07F
	s_barrier                                                  // 000000004B00: BF8A0000
	ds_read_b32 v58, v21                                       // 000000004B04: D86C0000 3A000015
	ds_read_b32 v59, v21 offset:64                             // 000000004B0C: D86C0040 3B000015
	ds_read_b32 v62, v21 offset:2176                           // 000000004B14: D86C0880 3E000015
	ds_read_b32 v63, v21 offset:2240                           // 000000004B1C: D86C08C0 3F000015
	ds_read_b32 v66, v21 offset:4352                           // 000000004B24: D86C1100 42000015
	ds_read_b32 v67, v21 offset:4416                           // 000000004B2C: D86C1140 43000015
	ds_read_b32 v70, v21 offset:6528                           // 000000004B34: D86C1980 46000015
	ds_read_b32 v71, v21 offset:6592                           // 000000004B3C: D86C19C0 47000015
	s_waitcnt lgkmcnt(0)                                       // 000000004B44: BF8CC07F
	v_mov_b32_e32 v7, 0                                        // 000000004B48: 7E0E0280
	s_mov_b64 exec, s[36:37]                                   // 000000004B4C: BEFE0124
	v_mov_b32_e32 v6, v44                                      // 000000004B50: 7E0C032C
	s_mov_b64 s[60:61], 0                                      // 000000004B54: BEBC0180
	v_readlane_b32 s82, v3, 0                                  // 000000004B58: D2890052 00010103
	s_and_b32 s82, s82, 0xffffff                               // 000000004B60: 8652FF52 00FFFFFF
	s_cmp_lt_u32 s82, s66                                      // 000000004B68: BF0A4252
	s_cselect_b32 s20, s36, s60                                // 000000004B6C: 85143C24
	v_readlane_b32 s82, v3, 1                                  // 000000004B70: D2890052 00010303
	s_and_b32 s82, s82, 0xffffff                               // 000000004B78: 8652FF52 00FFFFFF
	s_cmp_lt_u32 s82, s66                                      // 000000004B80: BF0A4252
	s_cselect_b32 s21, s36, s60                                // 000000004B84: 85153C24
	s_mov_b64 exec, s[20:21]                                   // 000000004B88: BEFE0114
	global_atomic_add_f32 v6, v58, s[8:9] offset:8             // 000000004B8C: DD348008 00083A06
	s_mov_b64 exec, s[36:37]                                   // 000000004B94: BEFE0124
	v_mov_b32_e32 v6, v45                                      // 000000004B98: 7E0C032D
	s_mov_b64 s[60:61], 0                                      // 000000004B9C: BEBC0180
	v_readlane_b32 s82, v3, 2                                  // 000000004BA0: D2890052 00010503
	s_and_b32 s82, s82, 0xffffff                               // 000000004BA8: 8652FF52 00FFFFFF
	s_cmp_lt_u32 s82, s66                                      // 000000004BB0: BF0A4252
	s_cselect_b32 s20, s36, s60                                // 000000004BB4: 85143C24
	v_readlane_b32 s82, v3, 3                                  // 000000004BB8: D2890052 00010703
	s_and_b32 s82, s82, 0xffffff                               // 000000004BC0: 8652FF52 00FFFFFF
	s_cmp_lt_u32 s82, s66                                      // 000000004BC8: BF0A4252
	s_cselect_b32 s21, s36, s60                                // 000000004BCC: 85153C24
	s_mov_b64 exec, s[20:21]                                   // 000000004BD0: BEFE0114
	global_atomic_add_f32 v6, v59, s[8:9] offset:8             // 000000004BD4: DD348008 00083B06
	s_mov_b64 exec, s[36:37]                                   // 000000004BDC: BEFE0124
	v_mov_b32_e32 v6, v46                                      // 000000004BE0: 7E0C032E
	s_mov_b64 s[60:61], 0                                      // 000000004BE4: BEBC0180
	v_readlane_b32 s82, v3, 4                                  // 000000004BE8: D2890052 00010903
	s_and_b32 s82, s82, 0xffffff                               // 000000004BF0: 8652FF52 00FFFFFF
	s_cmp_lt_u32 s82, s66                                      // 000000004BF8: BF0A4252
	s_cselect_b32 s20, s36, s60                                // 000000004BFC: 85143C24
	v_readlane_b32 s82, v3, 5                                  // 000000004C00: D2890052 00010B03
	s_and_b32 s82, s82, 0xffffff                               // 000000004C08: 8652FF52 00FFFFFF
	s_cmp_lt_u32 s82, s66                                      // 000000004C10: BF0A4252
	s_cselect_b32 s21, s36, s60                                // 000000004C14: 85153C24
	s_mov_b64 exec, s[20:21]                                   // 000000004C18: BEFE0114
	global_atomic_add_f32 v6, v62, s[8:9] offset:8             // 000000004C1C: DD348008 00083E06
	s_mov_b64 exec, s[36:37]                                   // 000000004C24: BEFE0124
	v_mov_b32_e32 v6, v47                                      // 000000004C28: 7E0C032F
	s_mov_b64 s[60:61], 0                                      // 000000004C2C: BEBC0180
	v_readlane_b32 s82, v3, 6                                  // 000000004C30: D2890052 00010D03
	s_and_b32 s82, s82, 0xffffff                               // 000000004C38: 8652FF52 00FFFFFF
	s_cmp_lt_u32 s82, s66                                      // 000000004C40: BF0A4252
	s_cselect_b32 s20, s36, s60                                // 000000004C44: 85143C24
	v_readlane_b32 s82, v3, 7                                  // 000000004C48: D2890052 00010F03
	s_and_b32 s82, s82, 0xffffff                               // 000000004C50: 8652FF52 00FFFFFF
	s_cmp_lt_u32 s82, s66                                      // 000000004C58: BF0A4252
	s_cselect_b32 s21, s36, s60                                // 000000004C5C: 85153C24
	s_mov_b64 exec, s[20:21]                                   // 000000004C60: BEFE0114
	global_atomic_add_f32 v6, v63, s[8:9] offset:8             // 000000004C64: DD348008 00083F06
	s_mov_b64 exec, s[36:37]                                   // 000000004C6C: BEFE0124
	v_mov_b32_e32 v6, v48                                      // 000000004C70: 7E0C0330
	s_mov_b64 s[60:61], 0                                      // 000000004C74: BEBC0180
	v_readlane_b32 s82, v3, 8                                  // 000000004C78: D2890052 00011103
	s_and_b32 s82, s82, 0xffffff                               // 000000004C80: 8652FF52 00FFFFFF
	s_cmp_lt_u32 s82, s66                                      // 000000004C88: BF0A4252
	s_cselect_b32 s20, s36, s60                                // 000000004C8C: 85143C24
	v_readlane_b32 s82, v3, 9                                  // 000000004C90: D2890052 00011303
	s_and_b32 s82, s82, 0xffffff                               // 000000004C98: 8652FF52 00FFFFFF
	s_cmp_lt_u32 s82, s66                                      // 000000004CA0: BF0A4252
	s_cselect_b32 s21, s36, s60                                // 000000004CA4: 85153C24
	s_mov_b64 exec, s[20:21]                                   // 000000004CA8: BEFE0114
	global_atomic_add_f32 v6, v66, s[8:9] offset:8             // 000000004CAC: DD348008 00084206
	s_mov_b64 exec, s[36:37]                                   // 000000004CB4: BEFE0124
	v_mov_b32_e32 v6, v49                                      // 000000004CB8: 7E0C0331
	s_mov_b64 s[60:61], 0                                      // 000000004CBC: BEBC0180
	v_readlane_b32 s82, v3, 10                                 // 000000004CC0: D2890052 00011503
	s_and_b32 s82, s82, 0xffffff                               // 000000004CC8: 8652FF52 00FFFFFF
	s_cmp_lt_u32 s82, s66                                      // 000000004CD0: BF0A4252
	s_cselect_b32 s20, s36, s60                                // 000000004CD4: 85143C24
	v_readlane_b32 s82, v3, 11                                 // 000000004CD8: D2890052 00011703
	s_and_b32 s82, s82, 0xffffff                               // 000000004CE0: 8652FF52 00FFFFFF
	s_cmp_lt_u32 s82, s66                                      // 000000004CE8: BF0A4252
	s_cselect_b32 s21, s36, s60                                // 000000004CEC: 85153C24
	s_mov_b64 exec, s[20:21]                                   // 000000004CF0: BEFE0114
	global_atomic_add_f32 v6, v67, s[8:9] offset:8             // 000000004CF4: DD348008 00084306
	s_mov_b64 exec, s[36:37]                                   // 000000004CFC: BEFE0124
	v_mov_b32_e32 v6, v50                                      // 000000004D00: 7E0C0332
	s_mov_b64 s[60:61], 0                                      // 000000004D04: BEBC0180
	v_readlane_b32 s82, v3, 12                                 // 000000004D08: D2890052 00011903
	s_and_b32 s82, s82, 0xffffff                               // 000000004D10: 8652FF52 00FFFFFF
	s_cmp_lt_u32 s82, s66                                      // 000000004D18: BF0A4252
	s_cselect_b32 s20, s36, s60                                // 000000004D1C: 85143C24
	v_readlane_b32 s82, v3, 13                                 // 000000004D20: D2890052 00011B03
	s_and_b32 s82, s82, 0xffffff                               // 000000004D28: 8652FF52 00FFFFFF
	s_cmp_lt_u32 s82, s66                                      // 000000004D30: BF0A4252
	s_cselect_b32 s21, s36, s60                                // 000000004D34: 85153C24
	s_mov_b64 exec, s[20:21]                                   // 000000004D38: BEFE0114
	global_atomic_add_f32 v6, v70, s[8:9] offset:8             // 000000004D3C: DD348008 00084606
	s_mov_b64 exec, s[36:37]                                   // 000000004D44: BEFE0124
	v_mov_b32_e32 v6, v51                                      // 000000004D48: 7E0C0333
	s_mov_b64 s[60:61], 0                                      // 000000004D4C: BEBC0180
	v_readlane_b32 s82, v3, 14                                 // 000000004D50: D2890052 00011D03
	s_and_b32 s82, s82, 0xffffff                               // 000000004D58: 8652FF52 00FFFFFF
	s_cmp_lt_u32 s82, s66                                      // 000000004D60: BF0A4252
	s_cselect_b32 s20, s36, s60                                // 000000004D64: 85143C24
	v_readlane_b32 s82, v3, 15                                 // 000000004D68: D2890052 00011F03
	s_and_b32 s82, s82, 0xffffff                               // 000000004D70: 8652FF52 00FFFFFF
	s_cmp_lt_u32 s82, s66                                      // 000000004D78: BF0A4252
	s_cselect_b32 s21, s36, s60                                // 000000004D7C: 85153C24
	s_mov_b64 exec, s[20:21]                                   // 000000004D80: BEFE0114
	global_atomic_add_f32 v6, v71, s[8:9] offset:8             // 000000004D84: DD348008 00084706
	s_mov_b64 exec, s[36:37]                                   // 000000004D8C: BEFE0124
	ds_write_b64 v20, v[72:73]                                 // 000000004D90: D89A0000 00004814
	ds_write_b64 v20, v[76:77] offset:2176                     // 000000004D98: D89A0880 00004C14
	ds_write_b64 v20, v[80:81] offset:4352                     // 000000004DA0: D89A1100 00005014
	ds_write_b64 v20, v[84:85] offset:6528                     // 000000004DA8: D89A1980 00005414
	s_waitcnt lgkmcnt(0)                                       // 000000004DB0: BF8CC07F
	s_barrier                                                  // 000000004DB4: BF8A0000
	ds_read_b32 v72, v21                                       // 000000004DB8: D86C0000 48000015
	ds_read_b32 v73, v21 offset:64                             // 000000004DC0: D86C0040 49000015
	ds_read_b32 v76, v21 offset:2176                           // 000000004DC8: D86C0880 4C000015
	ds_read_b32 v77, v21 offset:2240                           // 000000004DD0: D86C08C0 4D000015
	ds_read_b32 v80, v21 offset:4352                           // 000000004DD8: D86C1100 50000015
	ds_read_b32 v81, v21 offset:4416                           // 000000004DE0: D86C1140 51000015
	ds_read_b32 v84, v21 offset:6528                           // 000000004DE8: D86C1980 54000015
	ds_read_b32 v85, v21 offset:6592                           // 000000004DF0: D86C19C0 55000015
	s_mul_i32 s60, s65, 4                                      // 000000004DF8: 923C8441
	s_add_u32 s8, s60, s8                                      // 000000004DFC: 8008083C
	s_addc_u32 s9, 0, s9                                       // 000000004E00: 82090980
	s_waitcnt lgkmcnt(0)                                       // 000000004E04: BF8CC07F
	v_mov_b32_e32 v7, 0                                        // 000000004E08: 7E0E0280
	s_mov_b64 exec, s[36:37]                                   // 000000004E0C: BEFE0124
	v_mov_b32_e32 v6, v44                                      // 000000004E10: 7E0C032C
	s_mov_b64 s[60:61], 0                                      // 000000004E14: BEBC0180
	v_readlane_b32 s82, v3, 0                                  // 000000004E18: D2890052 00010103
	s_and_b32 s82, s82, 0xffffff                               // 000000004E20: 8652FF52 00FFFFFF
	s_cmp_lt_u32 s82, s66                                      // 000000004E28: BF0A4252
	s_cselect_b32 s20, s36, s60                                // 000000004E2C: 85143C24
	v_readlane_b32 s82, v3, 1                                  // 000000004E30: D2890052 00010303
	s_and_b32 s82, s82, 0xffffff                               // 000000004E38: 8652FF52 00FFFFFF
	s_cmp_lt_u32 s82, s66                                      // 000000004E40: BF0A4252
	s_cselect_b32 s21, s36, s60                                // 000000004E44: 85153C24
	s_mov_b64 exec, s[20:21]                                   // 000000004E48: BEFE0114
	global_atomic_add_f32 v6, v72, s[8:9]                      // 000000004E4C: DD348000 00084806
	s_mov_b64 exec, s[36:37]                                   // 000000004E54: BEFE0124
	v_mov_b32_e32 v6, v45                                      // 000000004E58: 7E0C032D
	s_mov_b64 s[60:61], 0                                      // 000000004E5C: BEBC0180
	v_readlane_b32 s82, v3, 2                                  // 000000004E60: D2890052 00010503
	s_and_b32 s82, s82, 0xffffff                               // 000000004E68: 8652FF52 00FFFFFF
	s_cmp_lt_u32 s82, s66                                      // 000000004E70: BF0A4252
	s_cselect_b32 s20, s36, s60                                // 000000004E74: 85143C24
	v_readlane_b32 s82, v3, 3                                  // 000000004E78: D2890052 00010703
	s_and_b32 s82, s82, 0xffffff                               // 000000004E80: 8652FF52 00FFFFFF
	s_cmp_lt_u32 s82, s66                                      // 000000004E88: BF0A4252
	s_cselect_b32 s21, s36, s60                                // 000000004E8C: 85153C24
	s_mov_b64 exec, s[20:21]                                   // 000000004E90: BEFE0114
	global_atomic_add_f32 v6, v73, s[8:9]                      // 000000004E94: DD348000 00084906
	s_mov_b64 exec, s[36:37]                                   // 000000004E9C: BEFE0124
	v_mov_b32_e32 v6, v46                                      // 000000004EA0: 7E0C032E
	s_mov_b64 s[60:61], 0                                      // 000000004EA4: BEBC0180
	v_readlane_b32 s82, v3, 4                                  // 000000004EA8: D2890052 00010903
	s_and_b32 s82, s82, 0xffffff                               // 000000004EB0: 8652FF52 00FFFFFF
	s_cmp_lt_u32 s82, s66                                      // 000000004EB8: BF0A4252
	s_cselect_b32 s20, s36, s60                                // 000000004EBC: 85143C24
	v_readlane_b32 s82, v3, 5                                  // 000000004EC0: D2890052 00010B03
	s_and_b32 s82, s82, 0xffffff                               // 000000004EC8: 8652FF52 00FFFFFF
	s_cmp_lt_u32 s82, s66                                      // 000000004ED0: BF0A4252
	s_cselect_b32 s21, s36, s60                                // 000000004ED4: 85153C24
	s_mov_b64 exec, s[20:21]                                   // 000000004ED8: BEFE0114
	global_atomic_add_f32 v6, v76, s[8:9]                      // 000000004EDC: DD348000 00084C06
	s_mov_b64 exec, s[36:37]                                   // 000000004EE4: BEFE0124
	v_mov_b32_e32 v6, v47                                      // 000000004EE8: 7E0C032F
	s_mov_b64 s[60:61], 0                                      // 000000004EEC: BEBC0180
	v_readlane_b32 s82, v3, 6                                  // 000000004EF0: D2890052 00010D03
	s_and_b32 s82, s82, 0xffffff                               // 000000004EF8: 8652FF52 00FFFFFF
	s_cmp_lt_u32 s82, s66                                      // 000000004F00: BF0A4252
	s_cselect_b32 s20, s36, s60                                // 000000004F04: 85143C24
	v_readlane_b32 s82, v3, 7                                  // 000000004F08: D2890052 00010F03
	s_and_b32 s82, s82, 0xffffff                               // 000000004F10: 8652FF52 00FFFFFF
	s_cmp_lt_u32 s82, s66                                      // 000000004F18: BF0A4252
	s_cselect_b32 s21, s36, s60                                // 000000004F1C: 85153C24
	s_mov_b64 exec, s[20:21]                                   // 000000004F20: BEFE0114
	global_atomic_add_f32 v6, v77, s[8:9]                      // 000000004F24: DD348000 00084D06
	s_mov_b64 exec, s[36:37]                                   // 000000004F2C: BEFE0124
	v_mov_b32_e32 v6, v48                                      // 000000004F30: 7E0C0330
	s_mov_b64 s[60:61], 0                                      // 000000004F34: BEBC0180
	v_readlane_b32 s82, v3, 8                                  // 000000004F38: D2890052 00011103
	s_and_b32 s82, s82, 0xffffff                               // 000000004F40: 8652FF52 00FFFFFF
	s_cmp_lt_u32 s82, s66                                      // 000000004F48: BF0A4252
	s_cselect_b32 s20, s36, s60                                // 000000004F4C: 85143C24
	v_readlane_b32 s82, v3, 9                                  // 000000004F50: D2890052 00011303
	s_and_b32 s82, s82, 0xffffff                               // 000000004F58: 8652FF52 00FFFFFF
	s_cmp_lt_u32 s82, s66                                      // 000000004F60: BF0A4252
	s_cselect_b32 s21, s36, s60                                // 000000004F64: 85153C24
	s_mov_b64 exec, s[20:21]                                   // 000000004F68: BEFE0114
	global_atomic_add_f32 v6, v80, s[8:9]                      // 000000004F6C: DD348000 00085006
	s_mov_b64 exec, s[36:37]                                   // 000000004F74: BEFE0124
	v_mov_b32_e32 v6, v49                                      // 000000004F78: 7E0C0331
	s_mov_b64 s[60:61], 0                                      // 000000004F7C: BEBC0180
	v_readlane_b32 s82, v3, 10                                 // 000000004F80: D2890052 00011503
	s_and_b32 s82, s82, 0xffffff                               // 000000004F88: 8652FF52 00FFFFFF
	s_cmp_lt_u32 s82, s66                                      // 000000004F90: BF0A4252
	s_cselect_b32 s20, s36, s60                                // 000000004F94: 85143C24
	v_readlane_b32 s82, v3, 11                                 // 000000004F98: D2890052 00011703
	s_and_b32 s82, s82, 0xffffff                               // 000000004FA0: 8652FF52 00FFFFFF
	s_cmp_lt_u32 s82, s66                                      // 000000004FA8: BF0A4252
	s_cselect_b32 s21, s36, s60                                // 000000004FAC: 85153C24
	s_mov_b64 exec, s[20:21]                                   // 000000004FB0: BEFE0114
	global_atomic_add_f32 v6, v81, s[8:9]                      // 000000004FB4: DD348000 00085106
	s_mov_b64 exec, s[36:37]                                   // 000000004FBC: BEFE0124
	v_mov_b32_e32 v6, v50                                      // 000000004FC0: 7E0C0332
	s_mov_b64 s[60:61], 0                                      // 000000004FC4: BEBC0180
	v_readlane_b32 s82, v3, 12                                 // 000000004FC8: D2890052 00011903
	s_and_b32 s82, s82, 0xffffff                               // 000000004FD0: 8652FF52 00FFFFFF
	s_cmp_lt_u32 s82, s66                                      // 000000004FD8: BF0A4252
	s_cselect_b32 s20, s36, s60                                // 000000004FDC: 85143C24
	v_readlane_b32 s82, v3, 13                                 // 000000004FE0: D2890052 00011B03
	s_and_b32 s82, s82, 0xffffff                               // 000000004FE8: 8652FF52 00FFFFFF
	s_cmp_lt_u32 s82, s66                                      // 000000004FF0: BF0A4252
	s_cselect_b32 s21, s36, s60                                // 000000004FF4: 85153C24
	s_mov_b64 exec, s[20:21]                                   // 000000004FF8: BEFE0114
	global_atomic_add_f32 v6, v84, s[8:9]                      // 000000004FFC: DD348000 00085406
	s_mov_b64 exec, s[36:37]                                   // 000000005004: BEFE0124
	v_mov_b32_e32 v6, v51                                      // 000000005008: 7E0C0333
	s_mov_b64 s[60:61], 0                                      // 00000000500C: BEBC0180
	v_readlane_b32 s82, v3, 14                                 // 000000005010: D2890052 00011D03
	s_and_b32 s82, s82, 0xffffff                               // 000000005018: 8652FF52 00FFFFFF
	s_cmp_lt_u32 s82, s66                                      // 000000005020: BF0A4252
	s_cselect_b32 s20, s36, s60                                // 000000005024: 85143C24
	v_readlane_b32 s82, v3, 15                                 // 000000005028: D2890052 00011F03
	s_and_b32 s82, s82, 0xffffff                               // 000000005030: 8652FF52 00FFFFFF
	s_cmp_lt_u32 s82, s66                                      // 000000005038: BF0A4252
	s_cselect_b32 s21, s36, s60                                // 00000000503C: 85153C24
	s_mov_b64 exec, s[20:21]                                   // 000000005040: BEFE0114
	global_atomic_add_f32 v6, v85, s[8:9]                      // 000000005044: DD348000 00085506
	s_mov_b64 exec, s[36:37]                                   // 00000000504C: BEFE0124
	ds_write_b64 v20, v[74:75]                                 // 000000005050: D89A0000 00004A14
	ds_write_b64 v20, v[78:79] offset:2176                     // 000000005058: D89A0880 00004E14
	ds_write_b64 v20, v[82:83] offset:4352                     // 000000005060: D89A1100 00005214
	ds_write_b64 v20, v[86:87] offset:6528                     // 000000005068: D89A1980 00005614
	s_waitcnt lgkmcnt(0)                                       // 000000005070: BF8CC07F
	s_barrier                                                  // 000000005074: BF8A0000
	ds_read_b32 v74, v21                                       // 000000005078: D86C0000 4A000015
	ds_read_b32 v75, v21 offset:64                             // 000000005080: D86C0040 4B000015
	ds_read_b32 v78, v21 offset:2176                           // 000000005088: D86C0880 4E000015
	ds_read_b32 v79, v21 offset:2240                           // 000000005090: D86C08C0 4F000015
	ds_read_b32 v82, v21 offset:4352                           // 000000005098: D86C1100 52000015
	ds_read_b32 v83, v21 offset:4416                           // 0000000050A0: D86C1140 53000015
	ds_read_b32 v86, v21 offset:6528                           // 0000000050A8: D86C1980 56000015
	ds_read_b32 v87, v21 offset:6592                           // 0000000050B0: D86C19C0 57000015
	s_waitcnt lgkmcnt(0)                                       // 0000000050B8: BF8CC07F
	v_mov_b32_e32 v7, 0                                        // 0000000050BC: 7E0E0280
	s_mov_b64 exec, s[36:37]                                   // 0000000050C0: BEFE0124
	v_mov_b32_e32 v6, v44                                      // 0000000050C4: 7E0C032C
	s_mov_b64 s[60:61], 0                                      // 0000000050C8: BEBC0180
	v_readlane_b32 s82, v3, 0                                  // 0000000050CC: D2890052 00010103
	s_and_b32 s82, s82, 0xffffff                               // 0000000050D4: 8652FF52 00FFFFFF
	s_cmp_lt_u32 s82, s66                                      // 0000000050DC: BF0A4252
	s_cselect_b32 s20, s36, s60                                // 0000000050E0: 85143C24
	v_readlane_b32 s82, v3, 1                                  // 0000000050E4: D2890052 00010303
	s_and_b32 s82, s82, 0xffffff                               // 0000000050EC: 8652FF52 00FFFFFF
	s_cmp_lt_u32 s82, s66                                      // 0000000050F4: BF0A4252
	s_cselect_b32 s21, s36, s60                                // 0000000050F8: 85153C24
	s_mov_b64 exec, s[20:21]                                   // 0000000050FC: BEFE0114
	global_atomic_add_f32 v6, v74, s[8:9] offset:8             // 000000005100: DD348008 00084A06
	s_mov_b64 exec, s[36:37]                                   // 000000005108: BEFE0124
	v_mov_b32_e32 v6, v45                                      // 00000000510C: 7E0C032D
	s_mov_b64 s[60:61], 0                                      // 000000005110: BEBC0180
	v_readlane_b32 s82, v3, 2                                  // 000000005114: D2890052 00010503
	s_and_b32 s82, s82, 0xffffff                               // 00000000511C: 8652FF52 00FFFFFF
	s_cmp_lt_u32 s82, s66                                      // 000000005124: BF0A4252
	s_cselect_b32 s20, s36, s60                                // 000000005128: 85143C24
	v_readlane_b32 s82, v3, 3                                  // 00000000512C: D2890052 00010703
	s_and_b32 s82, s82, 0xffffff                               // 000000005134: 8652FF52 00FFFFFF
	s_cmp_lt_u32 s82, s66                                      // 00000000513C: BF0A4252
	s_cselect_b32 s21, s36, s60                                // 000000005140: 85153C24
	s_mov_b64 exec, s[20:21]                                   // 000000005144: BEFE0114
	global_atomic_add_f32 v6, v75, s[8:9] offset:8             // 000000005148: DD348008 00084B06
	s_mov_b64 exec, s[36:37]                                   // 000000005150: BEFE0124
	v_mov_b32_e32 v6, v46                                      // 000000005154: 7E0C032E
	s_mov_b64 s[60:61], 0                                      // 000000005158: BEBC0180
	v_readlane_b32 s82, v3, 4                                  // 00000000515C: D2890052 00010903
	s_and_b32 s82, s82, 0xffffff                               // 000000005164: 8652FF52 00FFFFFF
	s_cmp_lt_u32 s82, s66                                      // 00000000516C: BF0A4252
	s_cselect_b32 s20, s36, s60                                // 000000005170: 85143C24
	v_readlane_b32 s82, v3, 5                                  // 000000005174: D2890052 00010B03
	s_and_b32 s82, s82, 0xffffff                               // 00000000517C: 8652FF52 00FFFFFF
	s_cmp_lt_u32 s82, s66                                      // 000000005184: BF0A4252
	s_cselect_b32 s21, s36, s60                                // 000000005188: 85153C24
	s_mov_b64 exec, s[20:21]                                   // 00000000518C: BEFE0114
	global_atomic_add_f32 v6, v78, s[8:9] offset:8             // 000000005190: DD348008 00084E06
	s_mov_b64 exec, s[36:37]                                   // 000000005198: BEFE0124
	v_mov_b32_e32 v6, v47                                      // 00000000519C: 7E0C032F
	s_mov_b64 s[60:61], 0                                      // 0000000051A0: BEBC0180
	v_readlane_b32 s82, v3, 6                                  // 0000000051A4: D2890052 00010D03
	s_and_b32 s82, s82, 0xffffff                               // 0000000051AC: 8652FF52 00FFFFFF
	s_cmp_lt_u32 s82, s66                                      // 0000000051B4: BF0A4252
	s_cselect_b32 s20, s36, s60                                // 0000000051B8: 85143C24
	v_readlane_b32 s82, v3, 7                                  // 0000000051BC: D2890052 00010F03
	s_and_b32 s82, s82, 0xffffff                               // 0000000051C4: 8652FF52 00FFFFFF
	s_cmp_lt_u32 s82, s66                                      // 0000000051CC: BF0A4252
	s_cselect_b32 s21, s36, s60                                // 0000000051D0: 85153C24
	s_mov_b64 exec, s[20:21]                                   // 0000000051D4: BEFE0114
	global_atomic_add_f32 v6, v79, s[8:9] offset:8             // 0000000051D8: DD348008 00084F06
	s_mov_b64 exec, s[36:37]                                   // 0000000051E0: BEFE0124
	v_mov_b32_e32 v6, v48                                      // 0000000051E4: 7E0C0330
	s_mov_b64 s[60:61], 0                                      // 0000000051E8: BEBC0180
	v_readlane_b32 s82, v3, 8                                  // 0000000051EC: D2890052 00011103
	s_and_b32 s82, s82, 0xffffff                               // 0000000051F4: 8652FF52 00FFFFFF
	s_cmp_lt_u32 s82, s66                                      // 0000000051FC: BF0A4252
	s_cselect_b32 s20, s36, s60                                // 000000005200: 85143C24
	v_readlane_b32 s82, v3, 9                                  // 000000005204: D2890052 00011303
	s_and_b32 s82, s82, 0xffffff                               // 00000000520C: 8652FF52 00FFFFFF
	s_cmp_lt_u32 s82, s66                                      // 000000005214: BF0A4252
	s_cselect_b32 s21, s36, s60                                // 000000005218: 85153C24
	s_mov_b64 exec, s[20:21]                                   // 00000000521C: BEFE0114
	global_atomic_add_f32 v6, v82, s[8:9] offset:8             // 000000005220: DD348008 00085206
	s_mov_b64 exec, s[36:37]                                   // 000000005228: BEFE0124
	v_mov_b32_e32 v6, v49                                      // 00000000522C: 7E0C0331
	s_mov_b64 s[60:61], 0                                      // 000000005230: BEBC0180
	v_readlane_b32 s82, v3, 10                                 // 000000005234: D2890052 00011503
	s_and_b32 s82, s82, 0xffffff                               // 00000000523C: 8652FF52 00FFFFFF
	s_cmp_lt_u32 s82, s66                                      // 000000005244: BF0A4252
	s_cselect_b32 s20, s36, s60                                // 000000005248: 85143C24
	v_readlane_b32 s82, v3, 11                                 // 00000000524C: D2890052 00011703
	s_and_b32 s82, s82, 0xffffff                               // 000000005254: 8652FF52 00FFFFFF
	s_cmp_lt_u32 s82, s66                                      // 00000000525C: BF0A4252
	s_cselect_b32 s21, s36, s60                                // 000000005260: 85153C24
	s_mov_b64 exec, s[20:21]                                   // 000000005264: BEFE0114
	global_atomic_add_f32 v6, v83, s[8:9] offset:8             // 000000005268: DD348008 00085306
	s_mov_b64 exec, s[36:37]                                   // 000000005270: BEFE0124
	v_mov_b32_e32 v6, v50                                      // 000000005274: 7E0C0332
	s_mov_b64 s[60:61], 0                                      // 000000005278: BEBC0180
	v_readlane_b32 s82, v3, 12                                 // 00000000527C: D2890052 00011903
	s_and_b32 s82, s82, 0xffffff                               // 000000005284: 8652FF52 00FFFFFF
	s_cmp_lt_u32 s82, s66                                      // 00000000528C: BF0A4252
	s_cselect_b32 s20, s36, s60                                // 000000005290: 85143C24
	v_readlane_b32 s82, v3, 13                                 // 000000005294: D2890052 00011B03
	s_and_b32 s82, s82, 0xffffff                               // 00000000529C: 8652FF52 00FFFFFF
	s_cmp_lt_u32 s82, s66                                      // 0000000052A4: BF0A4252
	s_cselect_b32 s21, s36, s60                                // 0000000052A8: 85153C24
	s_mov_b64 exec, s[20:21]                                   // 0000000052AC: BEFE0114
	global_atomic_add_f32 v6, v86, s[8:9] offset:8             // 0000000052B0: DD348008 00085606
	s_mov_b64 exec, s[36:37]                                   // 0000000052B8: BEFE0124
	v_mov_b32_e32 v6, v51                                      // 0000000052BC: 7E0C0333
	s_mov_b64 s[60:61], 0                                      // 0000000052C0: BEBC0180
	v_readlane_b32 s82, v3, 14                                 // 0000000052C4: D2890052 00011D03
	s_and_b32 s82, s82, 0xffffff                               // 0000000052CC: 8652FF52 00FFFFFF
	s_cmp_lt_u32 s82, s66                                      // 0000000052D4: BF0A4252
	s_cselect_b32 s20, s36, s60                                // 0000000052D8: 85143C24
	v_readlane_b32 s82, v3, 15                                 // 0000000052DC: D2890052 00011F03
	s_and_b32 s82, s82, 0xffffff                               // 0000000052E4: 8652FF52 00FFFFFF
	s_cmp_lt_u32 s82, s66                                      // 0000000052EC: BF0A4252
	s_cselect_b32 s21, s36, s60                                // 0000000052F0: 85153C24
	s_mov_b64 exec, s[20:21]                                   // 0000000052F4: BEFE0114
	global_atomic_add_f32 v6, v87, s[8:9] offset:8             // 0000000052F8: DD348008 00085706
	s_mov_b64 exec, s[36:37]                                   // 000000005300: BEFE0124
	s_branch label_1251                                        // 000000005304: BF82080C

0000000000005308 <label_0A45>:
	s_waitcnt vmcnt(0) lgkmcnt(0)                              // 000000005308: BF8C0070
	s_barrier                                                  // 00000000530C: BF8A0000
	v_mfma_f32_16x16x32_fp8_fp8 v[56:59], a[64:65], a[0:1], v[56:59]// 000000005310: D3F30038 1CE20140
	buffer_load_dwordx4 a[72:75], v52, s[84:87], 0 offen       // 000000005318: E05C1000 80954834
	v_mfma_f32_16x16x32_fp8_fp8 v[56:59], a[66:67], a[2:3], v[56:59]// 000000005320: D3F30038 1CE20542
	v_mfma_f32_16x16x32_fp8_fp8 v[56:59], a[68:69], a[4:5], v[56:59]// 000000005328: D3F30038 1CE20944
	v_mfma_f32_16x16x32_fp8_fp8 v[56:59], a[70:71], a[6:7], v[56:59]// 000000005330: D3F30038 1CE20D46
	v_mfma_f32_16x16x32_fp8_fp8 v[60:63], a[64:65], a[8:9], v[60:63]// 000000005338: D3F3003C 1CF21140
	buffer_load_dwordx4 a[76:79], v52, s[84:87], 0 offen offset:1024// 000000005340: E05C1400 80954C34
	buffer_load_dword v44, s[20:23], 0 offen lds               // 000000005348: E0511000 8005002C
	s_add_u32 m0, 0x100, s48                                   // 000000005350: 807C30FF 00000100
	v_mfma_f32_16x16x32_fp8_fp8 v[60:63], a[66:67], a[10:11], v[60:63]// 000000005358: D3F3003C 1CF21542
	v_mfma_f32_16x16x32_fp8_fp8 v[60:63], a[68:69], a[12:13], v[60:63]// 000000005360: D3F3003C 1CF21944
	buffer_load_dword v45, s[20:23], 0 offen lds               // 000000005368: E0511000 8005002D
	s_add_u32 m0, 0x200, s48                                   // 000000005370: 807C30FF 00000200
	v_mfma_f32_16x16x32_fp8_fp8 v[60:63], a[70:71], a[14:15], v[60:63]// 000000005378: D3F3003C 1CF21D46
	v_mfma_f32_16x16x32_fp8_fp8 v[64:67], a[64:65], a[16:17], v[64:67]// 000000005380: D3F30040 1D022140
	buffer_load_dword v46, s[20:23], 0 offen lds               // 000000005388: E0511000 8005002E
	s_add_u32 m0, 0x300, s48                                   // 000000005390: 807C30FF 00000300
	v_mfma_f32_16x16x32_fp8_fp8 v[64:67], a[66:67], a[18:19], v[64:67]// 000000005398: D3F30040 1D022542
	v_mfma_f32_16x16x32_fp8_fp8 v[64:67], a[68:69], a[20:21], v[64:67]// 0000000053A0: D3F30040 1D022944
	buffer_load_dword v47, s[20:23], 0 offen lds               // 0000000053A8: E0511000 8005002F
	s_add_u32 m0, 0x400, s48                                   // 0000000053B0: 807C30FF 00000400
	v_mfma_f32_16x16x32_fp8_fp8 v[64:67], a[70:71], a[22:23], v[64:67]// 0000000053B8: D3F30040 1D022D46
	v_mfma_f32_16x16x32_fp8_fp8 v[68:71], a[64:65], a[24:25], v[68:71]// 0000000053C0: D3F30044 1D123140
	buffer_load_dword v48, s[20:23], 0 offen lds               // 0000000053C8: E0511000 80050030
	s_add_u32 m0, 0x500, s48                                   // 0000000053D0: 807C30FF 00000500
	v_mfma_f32_16x16x32_fp8_fp8 v[68:71], a[66:67], a[26:27], v[68:71]// 0000000053D8: D3F30044 1D123542
	s_add_u32 s60, 0x80, s80                                   // 0000000053E0: 803C50FF 00000080
	s_cmp_lt_u32 s60, s81                                      // 0000000053E8: BF0A513C
	s_cselect_b32 s83, s83, 0                                  // 0000000053EC: 85538053
	v_mfma_f32_16x16x32_fp8_fp8 v[68:71], a[68:69], a[28:29], v[68:71]// 0000000053F0: D3F30044 1D123944
	buffer_load_dword v49, s[20:23], 0 offen lds               // 0000000053F8: E0511000 80050031
	s_add_u32 m0, 0x600, s48                                   // 000000005400: 807C30FF 00000600
	v_mfma_f32_16x16x32_fp8_fp8 v[68:71], a[70:71], a[30:31], v[68:71]// 000000005408: D3F30044 1D123D46
	buffer_load_dword v50, s[20:23], 0 offen lds               // 000000005410: E0511000 80050032
	s_add_u32 m0, 0x700, s48                                   // 000000005418: 807C30FF 00000700
	buffer_load_dword v51, s[20:23], 0 offen lds               // 000000005420: E0511000 80050033
	s_add_u32 m0, 0, s49                                       // 000000005428: 807C3180
	s_waitcnt vmcnt(8)                                         // 00000000542C: BF8C0F78
	v_mfma_f32_16x16x32_fp8_fp8 v[72:75], a[72:73], a[0:1], v[72:75]// 000000005430: D3F30048 1D220148
	buffer_load_dwordx4 a[64:67], v52, s[24:27], 0 offen       // 000000005438: E05C1000 80864034
	v_mfma_f32_16x16x32_fp8_fp8 v[72:75], a[74:75], a[2:3], v[72:75]// 000000005440: D3F30048 1D22054A
	v_mfma_f32_16x16x32_fp8_fp8 v[72:75], a[76:77], a[4:5], v[72:75]// 000000005448: D3F30048 1D22094C
	ds_read_b128 a[32:35], v2 offset:8320                      // 000000005450: DBFE2080 20000002
	ds_read_b128 a[36:39], v2 offset:8384                      // 000000005458: DBFE20C0 24000002
	v_mfma_f32_16x16x32_fp8_fp8 v[72:75], a[78:79], a[6:7], v[72:75]// 000000005460: D3F30048 1D220D4E
	v_mfma_f32_16x16x32_fp8_fp8 v[76:79], a[72:73], a[8:9], v[76:79]// 000000005468: D3F3004C 1D321148
	buffer_load_dwordx4 a[68:71], v52, s[24:27], 0 offen offset:1024// 000000005470: E05C1400 80864434
	v_mfma_f32_16x16x32_fp8_fp8 v[76:79], a[74:75], a[10:11], v[76:79]// 000000005478: D3F3004C 1D32154A
	v_mfma_f32_16x16x32_fp8_fp8 v[76:79], a[76:77], a[12:13], v[76:79]// 000000005480: D3F3004C 1D32194C
	ds_read_b128 a[40:43], v2 offset:8832                      // 000000005488: DBFE2280 28000002
	ds_read_b128 a[44:47], v2 offset:8896                      // 000000005490: DBFE22C0 2C000002
	v_mfma_f32_16x16x32_fp8_fp8 v[76:79], a[78:79], a[14:15], v[76:79]// 000000005498: D3F3004C 1D321D4E
	v_mfma_f32_16x16x32_fp8_fp8 v[80:83], a[72:73], a[16:17], v[80:83]// 0000000054A0: D3F30050 1D422148
	v_mfma_f32_16x16x32_fp8_fp8 v[80:83], a[74:75], a[18:19], v[80:83]// 0000000054A8: D3F30050 1D42254A
	v_mfma_f32_16x16x32_fp8_fp8 v[80:83], a[76:77], a[20:21], v[80:83]// 0000000054B0: D3F30050 1D42294C
	ds_read_b128 a[48:51], v2 offset:9344                      // 0000000054B8: DBFE2480 30000002
	ds_read_b128 a[52:55], v2 offset:9408                      // 0000000054C0: DBFE24C0 34000002
	s_add_u32 s60, 0x180, s80                                  // 0000000054C8: 803C50FF 00000180
	s_cmp_lt_u32 s60, s81                                      // 0000000054D0: BF0A513C
	s_cselect_b32 s57, s57, 0                                  // 0000000054D4: 85398039
	v_mfma_f32_16x16x32_fp8_fp8 v[80:83], a[78:79], a[22:23], v[80:83]// 0000000054D8: D3F30050 1D422D4E
	s_add_u32 s60, 0x100, s80                                  // 0000000054E0: 803C50FF 00000100
	s_cmp_lt_u32 s60, s81                                      // 0000000054E8: BF0A513C
	s_cselect_b32 s58, s58, 0                                  // 0000000054EC: 853A803A
	v_mfma_f32_16x16x32_fp8_fp8 v[84:87], a[72:73], a[24:25], v[84:87]// 0000000054F0: D3F30054 1D523148
	s_add_u32 s24, s58, s24                                    // 0000000054F8: 8018183A
	s_addc_u32 s25, 0, s25                                     // 0000000054FC: 82191980
	v_mfma_f32_16x16x32_fp8_fp8 v[84:87], a[74:75], a[26:27], v[84:87]// 000000005500: D3F30054 1D52354A
	s_add_u32 s20, s57, s20                                    // 000000005508: 80141439
	s_addc_u32 s21, 0, s21                                     // 00000000550C: 82151580
	v_mfma_f32_16x16x32_fp8_fp8 v[84:87], a[76:77], a[28:29], v[84:87]// 000000005510: D3F30054 1D52394C
	ds_read_b128 a[56:59], v2 offset:9856                      // 000000005518: DBFE2680 38000002
	ds_read_b128 a[60:63], v2 offset:9920                      // 000000005520: DBFE26C0 3C000002
	s_add_u32 s84, s83, s84                                    // 000000005528: 80545453
	s_addc_u32 s85, 0, s85                                     // 00000000552C: 82555580
	v_mfma_f32_16x16x32_fp8_fp8 v[84:87], a[78:79], a[30:31], v[84:87]// 000000005530: D3F30054 1D523D4E
	s_addk_i32 s80, 0x80                                       // 000000005538: B7500080
	s_cmp_lt_i32 s80, s81                                      // 00000000553C: BF045150
	s_cbranch_scc0 label_0B64                                  // 000000005540: BF840090
	s_waitcnt vmcnt(0) lgkmcnt(0)                              // 000000005544: BF8C0070
	s_barrier                                                  // 000000005548: BF8A0000
	v_mfma_f32_16x16x32_fp8_fp8 v[56:59], a[64:65], a[32:33], v[56:59]// 00000000554C: D3F30038 1CE24140
	buffer_load_dwordx4 a[72:75], v52, s[84:87], 0 offen       // 000000005554: E05C1000 80954834
	v_mfma_f32_16x16x32_fp8_fp8 v[56:59], a[66:67], a[34:35], v[56:59]// 00000000555C: D3F30038 1CE24542
	v_mfma_f32_16x16x32_fp8_fp8 v[56:59], a[68:69], a[36:37], v[56:59]// 000000005564: D3F30038 1CE24944
	v_mfma_f32_16x16x32_fp8_fp8 v[56:59], a[70:71], a[38:39], v[56:59]// 00000000556C: D3F30038 1CE24D46
	v_mfma_f32_16x16x32_fp8_fp8 v[60:63], a[64:65], a[40:41], v[60:63]// 000000005574: D3F3003C 1CF25140
	buffer_load_dwordx4 a[76:79], v52, s[84:87], 0 offen offset:1024// 00000000557C: E05C1400 80954C34
	buffer_load_dword v44, s[20:23], 0 offen lds               // 000000005584: E0511000 8005002C
	s_add_u32 m0, 0x100, s49                                   // 00000000558C: 807C31FF 00000100
	v_mfma_f32_16x16x32_fp8_fp8 v[60:63], a[66:67], a[42:43], v[60:63]// 000000005594: D3F3003C 1CF25542
	v_mfma_f32_16x16x32_fp8_fp8 v[60:63], a[68:69], a[44:45], v[60:63]// 00000000559C: D3F3003C 1CF25944
	buffer_load_dword v45, s[20:23], 0 offen lds               // 0000000055A4: E0511000 8005002D
	s_add_u32 m0, 0x200, s49                                   // 0000000055AC: 807C31FF 00000200
	v_mfma_f32_16x16x32_fp8_fp8 v[60:63], a[70:71], a[46:47], v[60:63]// 0000000055B4: D3F3003C 1CF25D46
	v_mfma_f32_16x16x32_fp8_fp8 v[64:67], a[64:65], a[48:49], v[64:67]// 0000000055BC: D3F30040 1D026140
	buffer_load_dword v46, s[20:23], 0 offen lds               // 0000000055C4: E0511000 8005002E
	s_add_u32 m0, 0x300, s49                                   // 0000000055CC: 807C31FF 00000300
	v_mfma_f32_16x16x32_fp8_fp8 v[64:67], a[66:67], a[50:51], v[64:67]// 0000000055D4: D3F30040 1D026542
	v_mfma_f32_16x16x32_fp8_fp8 v[64:67], a[68:69], a[52:53], v[64:67]// 0000000055DC: D3F30040 1D026944
	buffer_load_dword v47, s[20:23], 0 offen lds               // 0000000055E4: E0511000 8005002F
	s_add_u32 m0, 0x400, s49                                   // 0000000055EC: 807C31FF 00000400
	v_mfma_f32_16x16x32_fp8_fp8 v[64:67], a[70:71], a[54:55], v[64:67]// 0000000055F4: D3F30040 1D026D46
	v_mfma_f32_16x16x32_fp8_fp8 v[68:71], a[64:65], a[56:57], v[68:71]// 0000000055FC: D3F30044 1D127140
	buffer_load_dword v48, s[20:23], 0 offen lds               // 000000005604: E0511000 80050030
	s_add_u32 m0, 0x500, s49                                   // 00000000560C: 807C31FF 00000500
	v_mfma_f32_16x16x32_fp8_fp8 v[68:71], a[66:67], a[58:59], v[68:71]// 000000005614: D3F30044 1D127542
	s_add_u32 s60, 0x80, s80                                   // 00000000561C: 803C50FF 00000080
	s_cmp_lt_u32 s60, s81                                      // 000000005624: BF0A513C
	s_cselect_b32 s83, s83, 0                                  // 000000005628: 85538053
	v_mfma_f32_16x16x32_fp8_fp8 v[68:71], a[68:69], a[60:61], v[68:71]// 00000000562C: D3F30044 1D127944
	buffer_load_dword v49, s[20:23], 0 offen lds               // 000000005634: E0511000 80050031
	s_add_u32 m0, 0x600, s49                                   // 00000000563C: 807C31FF 00000600
	v_mfma_f32_16x16x32_fp8_fp8 v[68:71], a[70:71], a[62:63], v[68:71]// 000000005644: D3F30044 1D127D46
	buffer_load_dword v50, s[20:23], 0 offen lds               // 00000000564C: E0511000 80050032
	s_add_u32 m0, 0x700, s49                                   // 000000005654: 807C31FF 00000700
	buffer_load_dword v51, s[20:23], 0 offen lds               // 00000000565C: E0511000 80050033
	s_add_u32 m0, 0, s48                                       // 000000005664: 807C3080
	s_waitcnt vmcnt(8)                                         // 000000005668: BF8C0F78
	v_mfma_f32_16x16x32_fp8_fp8 v[72:75], a[72:73], a[32:33], v[72:75]// 00000000566C: D3F30048 1D224148
	buffer_load_dwordx4 a[64:67], v52, s[24:27], 0 offen       // 000000005674: E05C1000 80864034
	v_mfma_f32_16x16x32_fp8_fp8 v[72:75], a[74:75], a[34:35], v[72:75]// 00000000567C: D3F30048 1D22454A
	v_mfma_f32_16x16x32_fp8_fp8 v[72:75], a[76:77], a[36:37], v[72:75]// 000000005684: D3F30048 1D22494C
	ds_read_b128 a[0:3], v2                                    // 00000000568C: DBFE0000 00000002
	ds_read_b128 a[4:7], v2 offset:64                          // 000000005694: DBFE0040 04000002
	v_mfma_f32_16x16x32_fp8_fp8 v[72:75], a[78:79], a[38:39], v[72:75]// 00000000569C: D3F30048 1D224D4E
	v_mfma_f32_16x16x32_fp8_fp8 v[76:79], a[72:73], a[40:41], v[76:79]// 0000000056A4: D3F3004C 1D325148
	buffer_load_dwordx4 a[68:71], v52, s[24:27], 0 offen offset:1024// 0000000056AC: E05C1400 80864434
	v_mfma_f32_16x16x32_fp8_fp8 v[76:79], a[74:75], a[42:43], v[76:79]// 0000000056B4: D3F3004C 1D32554A
	v_mfma_f32_16x16x32_fp8_fp8 v[76:79], a[76:77], a[44:45], v[76:79]// 0000000056BC: D3F3004C 1D32594C
	ds_read_b128 a[8:11], v2 offset:512                        // 0000000056C4: DBFE0200 08000002
	ds_read_b128 a[12:15], v2 offset:576                       // 0000000056CC: DBFE0240 0C000002
	v_mfma_f32_16x16x32_fp8_fp8 v[76:79], a[78:79], a[46:47], v[76:79]// 0000000056D4: D3F3004C 1D325D4E
	v_mfma_f32_16x16x32_fp8_fp8 v[80:83], a[72:73], a[48:49], v[80:83]// 0000000056DC: D3F30050 1D426148
	v_mfma_f32_16x16x32_fp8_fp8 v[80:83], a[74:75], a[50:51], v[80:83]// 0000000056E4: D3F30050 1D42654A
	v_mfma_f32_16x16x32_fp8_fp8 v[80:83], a[76:77], a[52:53], v[80:83]// 0000000056EC: D3F30050 1D42694C
	ds_read_b128 a[16:19], v2 offset:1024                      // 0000000056F4: DBFE0400 10000002
	ds_read_b128 a[20:23], v2 offset:1088                      // 0000000056FC: DBFE0440 14000002
	s_add_u32 s60, 0x180, s80                                  // 000000005704: 803C50FF 00000180
	s_cmp_lt_u32 s60, s81                                      // 00000000570C: BF0A513C
	s_cselect_b32 s57, s57, 0                                  // 000000005710: 85398039
	v_mfma_f32_16x16x32_fp8_fp8 v[80:83], a[78:79], a[54:55], v[80:83]// 000000005714: D3F30050 1D426D4E
	s_add_u32 s60, 0x100, s80                                  // 00000000571C: 803C50FF 00000100
	s_cmp_lt_u32 s60, s81                                      // 000000005724: BF0A513C
	s_cselect_b32 s58, s58, 0                                  // 000000005728: 853A803A
	v_mfma_f32_16x16x32_fp8_fp8 v[84:87], a[72:73], a[56:57], v[84:87]// 00000000572C: D3F30054 1D527148
	s_add_u32 s24, s58, s24                                    // 000000005734: 8018183A
	s_addc_u32 s25, 0, s25                                     // 000000005738: 82191980
	v_mfma_f32_16x16x32_fp8_fp8 v[84:87], a[74:75], a[58:59], v[84:87]// 00000000573C: D3F30054 1D52754A
	s_add_u32 s20, s57, s20                                    // 000000005744: 80141439
	s_addc_u32 s21, 0, s21                                     // 000000005748: 82151580
	v_mfma_f32_16x16x32_fp8_fp8 v[84:87], a[76:77], a[60:61], v[84:87]// 00000000574C: D3F30054 1D52794C
	ds_read_b128 a[24:27], v2 offset:1536                      // 000000005754: DBFE0600 18000002
	ds_read_b128 a[28:31], v2 offset:1600                      // 00000000575C: DBFE0640 1C000002
	s_add_u32 s84, s83, s84                                    // 000000005764: 80545453
	s_addc_u32 s85, 0, s85                                     // 000000005768: 82555580
	v_mfma_f32_16x16x32_fp8_fp8 v[84:87], a[78:79], a[62:63], v[84:87]// 00000000576C: D3F30054 1D527D4E
	s_addk_i32 s80, 0x80                                       // 000000005774: B7500080
	s_cmp_lt_i32 s80, s81                                      // 000000005778: BF045150
	s_cbranch_scc0 label_0B64                                  // 00000000577C: BF840001
	s_branch label_0A45                                        // 000000005780: BF82FEE1

0000000000005784 <label_0B64>:
	v_mul_f32_dpp v56, v24, v56 row_newbcast:0 row_mask:0xf bank_mask:0xf// 000000005784: 0A7070FA FF015018
	v_mul_f32_dpp v57, v24, v57 row_newbcast:1 row_mask:0xf bank_mask:0xf// 00000000578C: 0A7272FA FF015118
	v_mul_f32_dpp v58, v24, v58 row_newbcast:2 row_mask:0xf bank_mask:0xf// 000000005794: 0A7474FA FF015218
	v_mul_f32_dpp v59, v24, v59 row_newbcast:3 row_mask:0xf bank_mask:0xf// 00000000579C: 0A7676FA FF015318
	v_mul_f32_dpp v60, v24, v60 row_newbcast:0 row_mask:0xf bank_mask:0xf// 0000000057A4: 0A7878FA FF015018
	v_mul_f32_dpp v61, v24, v61 row_newbcast:1 row_mask:0xf bank_mask:0xf// 0000000057AC: 0A7A7AFA FF015118
	v_mul_f32_dpp v62, v24, v62 row_newbcast:2 row_mask:0xf bank_mask:0xf// 0000000057B4: 0A7C7CFA FF015218
	v_mul_f32_dpp v63, v24, v63 row_newbcast:3 row_mask:0xf bank_mask:0xf// 0000000057BC: 0A7E7EFA FF015318
	v_mul_f32_dpp v64, v24, v64 row_newbcast:0 row_mask:0xf bank_mask:0xf// 0000000057C4: 0A8080FA FF015018
	v_mul_f32_dpp v65, v24, v65 row_newbcast:1 row_mask:0xf bank_mask:0xf// 0000000057CC: 0A8282FA FF015118
	v_mul_f32_dpp v66, v24, v66 row_newbcast:2 row_mask:0xf bank_mask:0xf// 0000000057D4: 0A8484FA FF015218
	v_mul_f32_dpp v67, v24, v67 row_newbcast:3 row_mask:0xf bank_mask:0xf// 0000000057DC: 0A8686FA FF015318
	v_mul_f32_dpp v68, v24, v68 row_newbcast:0 row_mask:0xf bank_mask:0xf// 0000000057E4: 0A8888FA FF015018
	v_mul_f32_dpp v69, v24, v69 row_newbcast:1 row_mask:0xf bank_mask:0xf// 0000000057EC: 0A8A8AFA FF015118
	v_mul_f32_dpp v70, v24, v70 row_newbcast:2 row_mask:0xf bank_mask:0xf// 0000000057F4: 0A8C8CFA FF015218
	v_mul_f32_dpp v71, v24, v71 row_newbcast:3 row_mask:0xf bank_mask:0xf// 0000000057FC: 0A8E8EFA FF015318
	v_mul_f32_dpp v72, v26, v72 row_newbcast:0 row_mask:0xf bank_mask:0xf// 000000005804: 0A9090FA FF01501A
	v_mul_f32_dpp v73, v26, v73 row_newbcast:1 row_mask:0xf bank_mask:0xf// 00000000580C: 0A9292FA FF01511A
	v_mul_f32_dpp v74, v26, v74 row_newbcast:2 row_mask:0xf bank_mask:0xf// 000000005814: 0A9494FA FF01521A
	v_mul_f32_dpp v75, v26, v75 row_newbcast:3 row_mask:0xf bank_mask:0xf// 00000000581C: 0A9696FA FF01531A
	v_mul_f32_dpp v76, v26, v76 row_newbcast:0 row_mask:0xf bank_mask:0xf// 000000005824: 0A9898FA FF01501A
	v_mul_f32_dpp v77, v26, v77 row_newbcast:1 row_mask:0xf bank_mask:0xf// 00000000582C: 0A9A9AFA FF01511A
	v_mul_f32_dpp v78, v26, v78 row_newbcast:2 row_mask:0xf bank_mask:0xf// 000000005834: 0A9C9CFA FF01521A
	v_mul_f32_dpp v79, v26, v79 row_newbcast:3 row_mask:0xf bank_mask:0xf// 00000000583C: 0A9E9EFA FF01531A
	v_mul_f32_dpp v80, v26, v80 row_newbcast:0 row_mask:0xf bank_mask:0xf// 000000005844: 0AA0A0FA FF01501A
	v_mul_f32_dpp v81, v26, v81 row_newbcast:1 row_mask:0xf bank_mask:0xf// 00000000584C: 0AA2A2FA FF01511A
	v_mul_f32_dpp v82, v26, v82 row_newbcast:2 row_mask:0xf bank_mask:0xf// 000000005854: 0AA4A4FA FF01521A
	v_mul_f32_dpp v83, v26, v83 row_newbcast:3 row_mask:0xf bank_mask:0xf// 00000000585C: 0AA6A6FA FF01531A
	v_mul_f32_dpp v84, v26, v84 row_newbcast:0 row_mask:0xf bank_mask:0xf// 000000005864: 0AA8A8FA FF01501A
	v_mul_f32_dpp v85, v26, v85 row_newbcast:1 row_mask:0xf bank_mask:0xf// 00000000586C: 0AAAAAFA FF01511A
	v_mul_f32_dpp v86, v26, v86 row_newbcast:2 row_mask:0xf bank_mask:0xf// 000000005874: 0AACACFA FF01521A
	v_mul_f32_dpp v87, v26, v87 row_newbcast:3 row_mask:0xf bank_mask:0xf// 00000000587C: 0AAEAEFA FF01531A
	v_mov_b32_e32 v4, v32                                      // 000000005884: 7E080320
	v_mov_b32_e32 v5, v4                                       // 000000005888: 7E0A0304
	v_pk_mul_f32 v[56:57], v[4:5], v[56:57]                    // 00000000588C: D3B14038 18027104
	v_pk_mul_f32 v[72:73], v[4:5], v[72:73]                    // 000000005894: D3B14048 18029104
	v_pk_mul_f32 v[58:59], v[4:5], v[58:59]                    // 00000000589C: D3B1403A 18027504
	v_pk_mul_f32 v[74:75], v[4:5], v[74:75]                    // 0000000058A4: D3B1404A 18029504
	v_mov_b32_e32 v4, v33                                      // 0000000058AC: 7E080321
	v_mov_b32_e32 v5, v4                                       // 0000000058B0: 7E0A0304
	v_pk_mul_f32 v[60:61], v[4:5], v[60:61]                    // 0000000058B4: D3B1403C 18027904
	v_pk_mul_f32 v[76:77], v[4:5], v[76:77]                    // 0000000058BC: D3B1404C 18029904
	v_pk_mul_f32 v[62:63], v[4:5], v[62:63]                    // 0000000058C4: D3B1403E 18027D04
	v_pk_mul_f32 v[78:79], v[4:5], v[78:79]                    // 0000000058CC: D3B1404E 18029D04
	v_mov_b32_e32 v4, v34                                      // 0000000058D4: 7E080322
	v_mov_b32_e32 v5, v4                                       // 0000000058D8: 7E0A0304
	v_pk_mul_f32 v[64:65], v[4:5], v[64:65]                    // 0000000058DC: D3B14040 18028104
	v_pk_mul_f32 v[80:81], v[4:5], v[80:81]                    // 0000000058E4: D3B14050 1802A104
	v_pk_mul_f32 v[66:67], v[4:5], v[66:67]                    // 0000000058EC: D3B14042 18028504
	v_pk_mul_f32 v[82:83], v[4:5], v[82:83]                    // 0000000058F4: D3B14052 1802A504
	v_mov_b32_e32 v4, v35                                      // 0000000058FC: 7E080323
	v_mov_b32_e32 v5, v4                                       // 000000005900: 7E0A0304
	v_pk_mul_f32 v[68:69], v[4:5], v[68:69]                    // 000000005904: D3B14044 18028904
	v_pk_mul_f32 v[84:85], v[4:5], v[84:85]                    // 00000000590C: D3B14054 1802A904
	v_pk_mul_f32 v[70:71], v[4:5], v[70:71]                    // 000000005914: D3B14046 18028D04
	v_pk_mul_f32 v[86:87], v[4:5], v[86:87]                    // 00000000591C: D3B14056 1802AD04
	s_cmp_eq_u32 s88, 0                                        // 000000005924: BF068058
	s_cbranch_scc0 label_0ED7                                  // 000000005928: BF840309
	s_cmp_eq_u32 s89, 0                                        // 00000000592C: BF068059
	s_cbranch_scc1 label_0C75                                  // 000000005930: BF8500A5
	v_mov_b32_e32 v8, v1                                       // 000000005934: 7E100301
	v_mov_b32_e32 v9, v1                                       // 000000005938: 7E120301
	s_mov_b32 s60, s6                                          // 00000000593C: BEBC0006
	s_mov_b32 s61, s6                                          // 000000005940: BEBD0006
	v_pk_mul_f32 v[4:5], v[56:57], v[56:57]                    // 000000005944: D3B14004 18027138
	v_pk_mul_f32 v[6:7], v[58:59], v[58:59]                    // 00000000594C: D3B14006 1802753A
	v_pk_fma_f32 v[4:5], v[4:5], s[78:79], v[8:9]              // 000000005954: D3B04004 1C209D04
	v_pk_fma_f32 v[6:7], v[6:7], s[78:79], v[8:9]              // 00000000595C: D3B04006 1C209D06
	v_pk_mul_f32 v[4:5], v[4:5], v[56:57]                      // 000000005964: D3B14004 18027104
	v_pk_mul_f32 v[6:7], v[6:7], v[58:59]                      // 00000000596C: D3B14006 18027506
	v_pk_mul_f32 v[4:5], v[4:5], s[60:61]                      // 000000005974: D3B14004 18007904
	v_pk_mul_f32 v[6:7], v[6:7], s[60:61]                      // 00000000597C: D3B14006 18007906
	v_exp_f32_e32 v4, v4                                       // 000000005984: 7E084104
	v_exp_f32_e32 v5, v5                                       // 000000005988: 7E0A4105
	v_exp_f32_e32 v6, v6                                       // 00000000598C: 7E0C4106
	v_exp_f32_e32 v7, v7                                       // 000000005990: 7E0E4107
	v_add_f32_e64 v4, v4, 1.0                                  // 000000005994: D1010004 0001E504
	v_add_f32_e64 v5, v5, 1.0                                  // 00000000599C: D1010005 0001E505
	v_add_f32_e64 v6, v6, 1.0                                  // 0000000059A4: D1010006 0001E506
	v_add_f32_e64 v7, v7, 1.0                                  // 0000000059AC: D1010007 0001E507
	v_rcp_f32_e32 v4, v4                                       // 0000000059B4: 7E084504
	v_rcp_f32_e32 v5, v5                                       // 0000000059B8: 7E0A4505
	v_rcp_f32_e32 v6, v6                                       // 0000000059BC: 7E0C4506
	v_rcp_f32_e32 v7, v7                                       // 0000000059C0: 7E0E4507
	v_mul_f32_e32 v56, v56, v4                                 // 0000000059C4: 0A700938
	v_mul_f32_e32 v57, v57, v5                                 // 0000000059C8: 0A720B39
	v_mul_f32_e32 v58, v58, v6                                 // 0000000059CC: 0A740D3A
	v_mul_f32_e32 v59, v59, v7                                 // 0000000059D0: 0A760F3B
	v_mul_f32_e32 v56, v56, v72                                // 0000000059D4: 0A709138
	v_mul_f32_e32 v57, v57, v73                                // 0000000059D8: 0A729339
	v_mul_f32_e32 v58, v58, v74                                // 0000000059DC: 0A74953A
	v_mul_f32_e32 v59, v59, v75                                // 0000000059E0: 0A76973B
	v_pk_mul_f32 v[4:5], v[60:61], v[60:61]                    // 0000000059E4: D3B14004 1802793C
	v_pk_mul_f32 v[6:7], v[62:63], v[62:63]                    // 0000000059EC: D3B14006 18027D3E
	v_pk_fma_f32 v[4:5], v[4:5], s[78:79], v[8:9]              // 0000000059F4: D3B04004 1C209D04
	v_pk_fma_f32 v[6:7], v[6:7], s[78:79], v[8:9]              // 0000000059FC: D3B04006 1C209D06
	v_pk_mul_f32 v[4:5], v[4:5], v[60:61]                      // 000000005A04: D3B14004 18027904
	v_pk_mul_f32 v[6:7], v[6:7], v[62:63]                      // 000000005A0C: D3B14006 18027D06
	v_pk_mul_f32 v[4:5], v[4:5], s[60:61]                      // 000000005A14: D3B14004 18007904
	v_pk_mul_f32 v[6:7], v[6:7], s[60:61]                      // 000000005A1C: D3B14006 18007906
	v_exp_f32_e32 v4, v4                                       // 000000005A24: 7E084104
	v_exp_f32_e32 v5, v5                                       // 000000005A28: 7E0A4105
	v_exp_f32_e32 v6, v6                                       // 000000005A2C: 7E0C4106
	v_exp_f32_e32 v7, v7                                       // 000000005A30: 7E0E4107
	v_add_f32_e64 v4, v4, 1.0                                  // 000000005A34: D1010004 0001E504
	v_add_f32_e64 v5, v5, 1.0                                  // 000000005A3C: D1010005 0001E505
	v_add_f32_e64 v6, v6, 1.0                                  // 000000005A44: D1010006 0001E506
	v_add_f32_e64 v7, v7, 1.0                                  // 000000005A4C: D1010007 0001E507
	v_rcp_f32_e32 v4, v4                                       // 000000005A54: 7E084504
	v_rcp_f32_e32 v5, v5                                       // 000000005A58: 7E0A4505
	v_rcp_f32_e32 v6, v6                                       // 000000005A5C: 7E0C4506
	v_rcp_f32_e32 v7, v7                                       // 000000005A60: 7E0E4507
	v_mul_f32_e32 v60, v60, v4                                 // 000000005A64: 0A78093C
	v_mul_f32_e32 v61, v61, v5                                 // 000000005A68: 0A7A0B3D
	v_mul_f32_e32 v62, v62, v6                                 // 000000005A6C: 0A7C0D3E
	v_mul_f32_e32 v63, v63, v7                                 // 000000005A70: 0A7E0F3F
	v_mul_f32_e32 v60, v60, v76                                // 000000005A74: 0A78993C
	v_mul_f32_e32 v61, v61, v77                                // 000000005A78: 0A7A9B3D
	v_mul_f32_e32 v62, v62, v78                                // 000000005A7C: 0A7C9D3E
	v_mul_f32_e32 v63, v63, v79                                // 000000005A80: 0A7E9F3F
	v_pk_mul_f32 v[4:5], v[64:65], v[64:65]                    // 000000005A84: D3B14004 18028140
	v_pk_mul_f32 v[6:7], v[66:67], v[66:67]                    // 000000005A8C: D3B14006 18028542
	v_pk_fma_f32 v[4:5], v[4:5], s[78:79], v[8:9]              // 000000005A94: D3B04004 1C209D04
	v_pk_fma_f32 v[6:7], v[6:7], s[78:79], v[8:9]              // 000000005A9C: D3B04006 1C209D06
	v_pk_mul_f32 v[4:5], v[4:5], v[64:65]                      // 000000005AA4: D3B14004 18028104
	v_pk_mul_f32 v[6:7], v[6:7], v[66:67]                      // 000000005AAC: D3B14006 18028506
	v_pk_mul_f32 v[4:5], v[4:5], s[60:61]                      // 000000005AB4: D3B14004 18007904
	v_pk_mul_f32 v[6:7], v[6:7], s[60:61]                      // 000000005ABC: D3B14006 18007906
	v_exp_f32_e32 v4, v4                                       // 000000005AC4: 7E084104
	v_exp_f32_e32 v5, v5                                       // 000000005AC8: 7E0A4105
	v_exp_f32_e32 v6, v6                                       // 000000005ACC: 7E0C4106
	v_exp_f32_e32 v7, v7                                       // 000000005AD0: 7E0E4107
	v_add_f32_e64 v4, v4, 1.0                                  // 000000005AD4: D1010004 0001E504
	v_add_f32_e64 v5, v5, 1.0                                  // 000000005ADC: D1010005 0001E505
	v_add_f32_e64 v6, v6, 1.0                                  // 000000005AE4: D1010006 0001E506
	v_add_f32_e64 v7, v7, 1.0                                  // 000000005AEC: D1010007 0001E507
	v_rcp_f32_e32 v4, v4                                       // 000000005AF4: 7E084504
	v_rcp_f32_e32 v5, v5                                       // 000000005AF8: 7E0A4505
	v_rcp_f32_e32 v6, v6                                       // 000000005AFC: 7E0C4506
	v_rcp_f32_e32 v7, v7                                       // 000000005B00: 7E0E4507
	v_mul_f32_e32 v64, v64, v4                                 // 000000005B04: 0A800940
	v_mul_f32_e32 v65, v65, v5                                 // 000000005B08: 0A820B41
	v_mul_f32_e32 v66, v66, v6                                 // 000000005B0C: 0A840D42
	v_mul_f32_e32 v67, v67, v7                                 // 000000005B10: 0A860F43
	v_mul_f32_e32 v64, v64, v80                                // 000000005B14: 0A80A140
	v_mul_f32_e32 v65, v65, v81                                // 000000005B18: 0A82A341
	v_mul_f32_e32 v66, v66, v82                                // 000000005B1C: 0A84A542
	v_mul_f32_e32 v67, v67, v83                                // 000000005B20: 0A86A743
	v_pk_mul_f32 v[4:5], v[68:69], v[68:69]                    // 000000005B24: D3B14004 18028944
	v_pk_mul_f32 v[6:7], v[70:71], v[70:71]                    // 000000005B2C: D3B14006 18028D46
	v_pk_fma_f32 v[4:5], v[4:5], s[78:79], v[8:9]              // 000000005B34: D3B04004 1C209D04
	v_pk_fma_f32 v[6:7], v[6:7], s[78:79], v[8:9]              // 000000005B3C: D3B04006 1C209D06
	v_pk_mul_f32 v[4:5], v[4:5], v[68:69]                      // 000000005B44: D3B14004 18028904
	v_pk_mul_f32 v[6:7], v[6:7], v[70:71]                      // 000000005B4C: D3B14006 18028D06
	v_pk_mul_f32 v[4:5], v[4:5], s[60:61]                      // 000000005B54: D3B14004 18007904
	v_pk_mul_f32 v[6:7], v[6:7], s[60:61]                      // 000000005B5C: D3B14006 18007906
	v_exp_f32_e32 v4, v4                                       // 000000005B64: 7E084104
	v_exp_f32_e32 v5, v5                                       // 000000005B68: 7E0A4105
	v_exp_f32_e32 v6, v6                                       // 000000005B6C: 7E0C4106
	v_exp_f32_e32 v7, v7                                       // 000000005B70: 7E0E4107
	v_add_f32_e64 v4, v4, 1.0                                  // 000000005B74: D1010004 0001E504
	v_add_f32_e64 v5, v5, 1.0                                  // 000000005B7C: D1010005 0001E505
	v_add_f32_e64 v6, v6, 1.0                                  // 000000005B84: D1010006 0001E506
	v_add_f32_e64 v7, v7, 1.0                                  // 000000005B8C: D1010007 0001E507
	v_rcp_f32_e32 v4, v4                                       // 000000005B94: 7E084504
	v_rcp_f32_e32 v5, v5                                       // 000000005B98: 7E0A4505
	v_rcp_f32_e32 v6, v6                                       // 000000005B9C: 7E0C4506
	v_rcp_f32_e32 v7, v7                                       // 000000005BA0: 7E0E4507
	v_mul_f32_e32 v68, v68, v4                                 // 000000005BA4: 0A880944
	v_mul_f32_e32 v69, v69, v5                                 // 000000005BA8: 0A8A0B45
	v_mul_f32_e32 v70, v70, v6                                 // 000000005BAC: 0A8C0D46
	v_mul_f32_e32 v71, v71, v7                                 // 000000005BB0: 0A8E0F47
	v_mul_f32_e32 v68, v68, v84                                // 000000005BB4: 0A88A944
	v_mul_f32_e32 v69, v69, v85                                // 000000005BB8: 0A8AAB45
	v_mul_f32_e32 v70, v70, v86                                // 000000005BBC: 0A8CAD46
	v_mul_f32_e32 v71, v71, v87                                // 000000005BC0: 0A8EAF47
	s_branch label_0CF5                                        // 000000005BC4: BF820080

0000000000005bc8 <label_0C75>:
	v_mul_f32_e64 v4, -v56, s6                                 // 000000005BC8: D1050004 20000D38
	v_mul_f32_e64 v5, -v57, s6                                 // 000000005BD0: D1050005 20000D39
	v_mul_f32_e64 v6, -v58, s6                                 // 000000005BD8: D1050006 20000D3A
	v_mul_f32_e64 v7, -v59, s6                                 // 000000005BE0: D1050007 20000D3B
	v_exp_f32_e32 v4, v4                                       // 000000005BE8: 7E084104
	v_exp_f32_e32 v5, v5                                       // 000000005BEC: 7E0A4105
	v_exp_f32_e32 v6, v6                                       // 000000005BF0: 7E0C4106
	v_exp_f32_e32 v7, v7                                       // 000000005BF4: 7E0E4107
	v_add_f32_e64 v4, v4, 1.0                                  // 000000005BF8: D1010004 0001E504
	v_add_f32_e64 v5, v5, 1.0                                  // 000000005C00: D1010005 0001E505
	v_add_f32_e64 v6, v6, 1.0                                  // 000000005C08: D1010006 0001E506
	v_add_f32_e64 v7, v7, 1.0                                  // 000000005C10: D1010007 0001E507
	v_rcp_f32_e32 v4, v4                                       // 000000005C18: 7E084504
	v_rcp_f32_e32 v5, v5                                       // 000000005C1C: 7E0A4505
	v_rcp_f32_e32 v6, v6                                       // 000000005C20: 7E0C4506
	v_rcp_f32_e32 v7, v7                                       // 000000005C24: 7E0E4507
	v_mul_f32_e32 v56, v56, v4                                 // 000000005C28: 0A700938
	v_mul_f32_e32 v57, v57, v5                                 // 000000005C2C: 0A720B39
	v_mul_f32_e32 v58, v58, v6                                 // 000000005C30: 0A740D3A
	v_mul_f32_e32 v59, v59, v7                                 // 000000005C34: 0A760F3B
	v_mul_f32_e32 v56, v56, v72                                // 000000005C38: 0A709138
	v_mul_f32_e32 v57, v57, v73                                // 000000005C3C: 0A729339
	v_mul_f32_e32 v58, v58, v74                                // 000000005C40: 0A74953A
	v_mul_f32_e32 v59, v59, v75                                // 000000005C44: 0A76973B
	v_mul_f32_e64 v4, -v60, s6                                 // 000000005C48: D1050004 20000D3C
	v_mul_f32_e64 v5, -v61, s6                                 // 000000005C50: D1050005 20000D3D
	v_mul_f32_e64 v6, -v62, s6                                 // 000000005C58: D1050006 20000D3E
	v_mul_f32_e64 v7, -v63, s6                                 // 000000005C60: D1050007 20000D3F
	v_exp_f32_e32 v4, v4                                       // 000000005C68: 7E084104
	v_exp_f32_e32 v5, v5                                       // 000000005C6C: 7E0A4105
	v_exp_f32_e32 v6, v6                                       // 000000005C70: 7E0C4106
	v_exp_f32_e32 v7, v7                                       // 000000005C74: 7E0E4107
	v_add_f32_e64 v4, v4, 1.0                                  // 000000005C78: D1010004 0001E504
	v_add_f32_e64 v5, v5, 1.0                                  // 000000005C80: D1010005 0001E505
	v_add_f32_e64 v6, v6, 1.0                                  // 000000005C88: D1010006 0001E506
	v_add_f32_e64 v7, v7, 1.0                                  // 000000005C90: D1010007 0001E507
	v_rcp_f32_e32 v4, v4                                       // 000000005C98: 7E084504
	v_rcp_f32_e32 v5, v5                                       // 000000005C9C: 7E0A4505
	v_rcp_f32_e32 v6, v6                                       // 000000005CA0: 7E0C4506
	v_rcp_f32_e32 v7, v7                                       // 000000005CA4: 7E0E4507
	v_mul_f32_e32 v60, v60, v4                                 // 000000005CA8: 0A78093C
	v_mul_f32_e32 v61, v61, v5                                 // 000000005CAC: 0A7A0B3D
	v_mul_f32_e32 v62, v62, v6                                 // 000000005CB0: 0A7C0D3E
	v_mul_f32_e32 v63, v63, v7                                 // 000000005CB4: 0A7E0F3F
	v_mul_f32_e32 v60, v60, v76                                // 000000005CB8: 0A78993C
	v_mul_f32_e32 v61, v61, v77                                // 000000005CBC: 0A7A9B3D
	v_mul_f32_e32 v62, v62, v78                                // 000000005CC0: 0A7C9D3E
	v_mul_f32_e32 v63, v63, v79                                // 000000005CC4: 0A7E9F3F
	v_mul_f32_e64 v4, -v64, s6                                 // 000000005CC8: D1050004 20000D40
	v_mul_f32_e64 v5, -v65, s6                                 // 000000005CD0: D1050005 20000D41
	v_mul_f32_e64 v6, -v66, s6                                 // 000000005CD8: D1050006 20000D42
	v_mul_f32_e64 v7, -v67, s6                                 // 000000005CE0: D1050007 20000D43
	v_exp_f32_e32 v4, v4                                       // 000000005CE8: 7E084104
	v_exp_f32_e32 v5, v5                                       // 000000005CEC: 7E0A4105
	v_exp_f32_e32 v6, v6                                       // 000000005CF0: 7E0C4106
	v_exp_f32_e32 v7, v7                                       // 000000005CF4: 7E0E4107
	v_add_f32_e64 v4, v4, 1.0                                  // 000000005CF8: D1010004 0001E504
	v_add_f32_e64 v5, v5, 1.0                                  // 000000005D00: D1010005 0001E505
	v_add_f32_e64 v6, v6, 1.0                                  // 000000005D08: D1010006 0001E506
	v_add_f32_e64 v7, v7, 1.0                                  // 000000005D10: D1010007 0001E507
	v_rcp_f32_e32 v4, v4                                       // 000000005D18: 7E084504
	v_rcp_f32_e32 v5, v5                                       // 000000005D1C: 7E0A4505
	v_rcp_f32_e32 v6, v6                                       // 000000005D20: 7E0C4506
	v_rcp_f32_e32 v7, v7                                       // 000000005D24: 7E0E4507
	v_mul_f32_e32 v64, v64, v4                                 // 000000005D28: 0A800940
	v_mul_f32_e32 v65, v65, v5                                 // 000000005D2C: 0A820B41
	v_mul_f32_e32 v66, v66, v6                                 // 000000005D30: 0A840D42
	v_mul_f32_e32 v67, v67, v7                                 // 000000005D34: 0A860F43
	v_mul_f32_e32 v64, v64, v80                                // 000000005D38: 0A80A140
	v_mul_f32_e32 v65, v65, v81                                // 000000005D3C: 0A82A341
	v_mul_f32_e32 v66, v66, v82                                // 000000005D40: 0A84A542
	v_mul_f32_e32 v67, v67, v83                                // 000000005D44: 0A86A743
	v_mul_f32_e64 v4, -v68, s6                                 // 000000005D48: D1050004 20000D44
	v_mul_f32_e64 v5, -v69, s6                                 // 000000005D50: D1050005 20000D45
	v_mul_f32_e64 v6, -v70, s6                                 // 000000005D58: D1050006 20000D46
	v_mul_f32_e64 v7, -v71, s6                                 // 000000005D60: D1050007 20000D47
	v_exp_f32_e32 v4, v4                                       // 000000005D68: 7E084104
	v_exp_f32_e32 v5, v5                                       // 000000005D6C: 7E0A4105
	v_exp_f32_e32 v6, v6                                       // 000000005D70: 7E0C4106
	v_exp_f32_e32 v7, v7                                       // 000000005D74: 7E0E4107
	v_add_f32_e64 v4, v4, 1.0                                  // 000000005D78: D1010004 0001E504
	v_add_f32_e64 v5, v5, 1.0                                  // 000000005D80: D1010005 0001E505
	v_add_f32_e64 v6, v6, 1.0                                  // 000000005D88: D1010006 0001E506
	v_add_f32_e64 v7, v7, 1.0                                  // 000000005D90: D1010007 0001E507
	v_rcp_f32_e32 v4, v4                                       // 000000005D98: 7E084504
	v_rcp_f32_e32 v5, v5                                       // 000000005D9C: 7E0A4505
	v_rcp_f32_e32 v6, v6                                       // 000000005DA0: 7E0C4506
	v_rcp_f32_e32 v7, v7                                       // 000000005DA4: 7E0E4507
	v_mul_f32_e32 v68, v68, v4                                 // 000000005DA8: 0A880944
	v_mul_f32_e32 v69, v69, v5                                 // 000000005DAC: 0A8A0B45
	v_mul_f32_e32 v70, v70, v6                                 // 000000005DB0: 0A8C0D46
	v_mul_f32_e32 v71, v71, v7                                 // 000000005DB4: 0A8E0F47
	v_mul_f32_e32 v68, v68, v84                                // 000000005DB8: 0A88A944
	v_mul_f32_e32 v69, v69, v85                                // 000000005DBC: 0A8AAB45
	v_mul_f32_e32 v70, v70, v86                                // 000000005DC0: 0A8CAD46
	v_mul_f32_e32 v71, v71, v87                                // 000000005DC4: 0A8EAF47

0000000000005dc8 <label_0CF5>:
	v_cmp_u_f32_e64 s[46:47], v56, v56                         // 000000005DC8: D048002E 00027138
	v_add3_u32 v16, v56, v19, 1                                // 000000005DD0: D1FF0010 02062738
	v_cndmask_b32_e64 v4, v16, v18, s[46:47]                   // 000000005DD8: D1000004 00BA2510
	v_cmp_u_f32_e64 s[46:47], v57, v57                         // 000000005DE0: D048002E 00027339
	v_add3_u32 v16, v57, v19, 1                                // 000000005DE8: D1FF0010 02062739
	v_cndmask_b32_e64 v5, v16, v18, s[46:47]                   // 000000005DF0: D1000005 00BA2510
	v_perm_b32 v56, v5, v4, s52                                // 000000005DF8: D1ED0038 00D20905
	v_cmp_u_f32_e64 s[46:47], v58, v58                         // 000000005E00: D048002E 0002753A
	v_add3_u32 v16, v58, v19, 1                                // 000000005E08: D1FF0010 0206273A
	v_cndmask_b32_e64 v4, v16, v18, s[46:47]                   // 000000005E10: D1000004 00BA2510
	v_cmp_u_f32_e64 s[46:47], v59, v59                         // 000000005E18: D048002E 0002773B
	v_add3_u32 v16, v59, v19, 1                                // 000000005E20: D1FF0010 0206273B
	v_cndmask_b32_e64 v5, v16, v18, s[46:47]                   // 000000005E28: D1000005 00BA2510
	v_perm_b32 v57, v5, v4, s52                                // 000000005E30: D1ED0039 00D20905
	v_cmp_u_f32_e64 s[46:47], v60, v60                         // 000000005E38: D048002E 0002793C
	v_add3_u32 v16, v60, v19, 1                                // 000000005E40: D1FF0010 0206273C
	v_cndmask_b32_e64 v4, v16, v18, s[46:47]                   // 000000005E48: D1000004 00BA2510
	v_cmp_u_f32_e64 s[46:47], v61, v61                         // 000000005E50: D048002E 00027B3D
	v_add3_u32 v16, v61, v19, 1                                // 000000005E58: D1FF0010 0206273D
	v_cndmask_b32_e64 v5, v16, v18, s[46:47]                   // 000000005E60: D1000005 00BA2510
	v_perm_b32 v58, v5, v4, s52                                // 000000005E68: D1ED003A 00D20905
	v_cmp_u_f32_e64 s[46:47], v62, v62                         // 000000005E70: D048002E 00027D3E
	v_add3_u32 v16, v62, v19, 1                                // 000000005E78: D1FF0010 0206273E
	v_cndmask_b32_e64 v4, v16, v18, s[46:47]                   // 000000005E80: D1000004 00BA2510
	v_cmp_u_f32_e64 s[46:47], v63, v63                         // 000000005E88: D048002E 00027F3F
	v_add3_u32 v16, v63, v19, 1                                // 000000005E90: D1FF0010 0206273F
	v_cndmask_b32_e64 v5, v16, v18, s[46:47]                   // 000000005E98: D1000005 00BA2510
	v_perm_b32 v59, v5, v4, s52                                // 000000005EA0: D1ED003B 00D20905
	v_cmp_u_f32_e64 s[46:47], v64, v64                         // 000000005EA8: D048002E 00028140
	v_add3_u32 v16, v64, v19, 1                                // 000000005EB0: D1FF0010 02062740
	v_cndmask_b32_e64 v4, v16, v18, s[46:47]                   // 000000005EB8: D1000004 00BA2510
	v_cmp_u_f32_e64 s[46:47], v65, v65                         // 000000005EC0: D048002E 00028341
	v_add3_u32 v16, v65, v19, 1                                // 000000005EC8: D1FF0010 02062741
	v_cndmask_b32_e64 v5, v16, v18, s[46:47]                   // 000000005ED0: D1000005 00BA2510
	v_perm_b32 v60, v5, v4, s52                                // 000000005ED8: D1ED003C 00D20905
	v_cmp_u_f32_e64 s[46:47], v66, v66                         // 000000005EE0: D048002E 00028542
	v_add3_u32 v16, v66, v19, 1                                // 000000005EE8: D1FF0010 02062742
	v_cndmask_b32_e64 v4, v16, v18, s[46:47]                   // 000000005EF0: D1000004 00BA2510
	v_cmp_u_f32_e64 s[46:47], v67, v67                         // 000000005EF8: D048002E 00028743
	v_add3_u32 v16, v67, v19, 1                                // 000000005F00: D1FF0010 02062743
	v_cndmask_b32_e64 v5, v16, v18, s[46:47]                   // 000000005F08: D1000005 00BA2510
	v_perm_b32 v61, v5, v4, s52                                // 000000005F10: D1ED003D 00D20905
	v_cmp_u_f32_e64 s[46:47], v68, v68                         // 000000005F18: D048002E 00028944
	v_add3_u32 v16, v68, v19, 1                                // 000000005F20: D1FF0010 02062744
	v_cndmask_b32_e64 v4, v16, v18, s[46:47]                   // 000000005F28: D1000004 00BA2510
	v_cmp_u_f32_e64 s[46:47], v69, v69                         // 000000005F30: D048002E 00028B45
	v_add3_u32 v16, v69, v19, 1                                // 000000005F38: D1FF0010 02062745
	v_cndmask_b32_e64 v5, v16, v18, s[46:47]                   // 000000005F40: D1000005 00BA2510
	v_perm_b32 v62, v5, v4, s52                                // 000000005F48: D1ED003E 00D20905
	v_cmp_u_f32_e64 s[46:47], v70, v70                         // 000000005F50: D048002E 00028D46
	v_add3_u32 v16, v70, v19, 1                                // 000000005F58: D1FF0010 02062746
	v_cndmask_b32_e64 v4, v16, v18, s[46:47]                   // 000000005F60: D1000004 00BA2510
	v_cmp_u_f32_e64 s[46:47], v71, v71                         // 000000005F68: D048002E 00028F47
	v_add3_u32 v16, v71, v19, 1                                // 000000005F70: D1FF0010 02062747
	v_cndmask_b32_e64 v5, v16, v18, s[46:47]                   // 000000005F78: D1000005 00BA2510
	v_perm_b32 v63, v5, v4, s52                                // 000000005F80: D1ED003F 00D20905
	ds_write_b64 v20, v[56:57]                                 // 000000005F88: D89A0000 00003814
	ds_write_b64 v20, v[58:59] offset:2176                     // 000000005F90: D89A0880 00003A14
	ds_write_b64 v20, v[60:61] offset:4352                     // 000000005F98: D89A1100 00003C14
	ds_write_b64 v20, v[62:63] offset:6528                     // 000000005FA0: D89A1980 00003E14
	v_lshrrev_b32_e32 v4, 5, v0                                // 000000005FA8: 20080085
	v_xor_b32_e32 v5, 1, v4                                    // 000000005FAC: 2A0A0881
	s_mul_i32 s60, s65, 2                                      // 000000005FB0: 923C8241
	s_cmp_eq_u32 s88, 0                                        // 000000005FB4: BF068058
	s_cselect_b32 s61, 1, 4                                    // 000000005FB8: 853D8481
	s_mul_i32 s60, s61, s60                                    // 000000005FBC: 923C3C3D
	v_readlane_b32 s82, v3, 0                                  // 000000005FC0: D2890052 00010103
	s_lshr_b32 s61, s82, 24                                    // 000000005FC8: 8F3D9852
	s_and_b32 s82, s82, 0xffffff                               // 000000005FCC: 8652FF52 00FFFFFF
	s_mul_i32 s82, s82, s71                                    // 000000005FD4: 92524752
	s_mul_i32 s61, s60, s61                                    // 000000005FD8: 923D3D3C
	s_add_u32 s82, s82, s61                                    // 000000005FDC: 80523D52
	v_mul_lo_u32 v6, v5, s82                                   // 000000005FE0: D2850006 0000A505
	v_readlane_b32 s82, v3, 1                                  // 000000005FE8: D2890052 00010303
	s_lshr_b32 s61, s82, 24                                    // 000000005FF0: 8F3D9852
	s_and_b32 s82, s82, 0xffffff                               // 000000005FF4: 8652FF52 00FFFFFF
	s_mul_i32 s82, s82, s71                                    // 000000005FFC: 92524752
	s_mul_i32 s61, s60, s61                                    // 000000006000: 923D3D3C
	s_add_u32 s82, s82, s61                                    // 000000006004: 80523D52
	v_mul_lo_u32 v7, v4, s82                                   // 000000006008: D2850007 0000A504
	v_add_u32_e32 v44, v6, v7                                  // 000000006010: 68580F06
	v_readlane_b32 s82, v3, 2                                  // 000000006014: D2890052 00010503
	s_lshr_b32 s61, s82, 24                                    // 00000000601C: 8F3D9852
	s_and_b32 s82, s82, 0xffffff                               // 000000006020: 8652FF52 00FFFFFF
	s_mul_i32 s82, s82, s71                                    // 000000006028: 92524752
	s_mul_i32 s61, s60, s61                                    // 00000000602C: 923D3D3C
	s_add_u32 s82, s82, s61                                    // 000000006030: 80523D52
	v_mul_lo_u32 v6, v5, s82                                   // 000000006034: D2850006 0000A505
	v_readlane_b32 s82, v3, 3                                  // 00000000603C: D2890052 00010703
	s_lshr_b32 s61, s82, 24                                    // 000000006044: 8F3D9852
	s_and_b32 s82, s82, 0xffffff                               // 000000006048: 8652FF52 00FFFFFF
	s_mul_i32 s82, s82, s71                                    // 000000006050: 92524752
	s_mul_i32 s61, s60, s61                                    // 000000006054: 923D3D3C
	s_add_u32 s82, s82, s61                                    // 000000006058: 80523D52
	v_mul_lo_u32 v7, v4, s82                                   // 00000000605C: D2850007 0000A504
	v_add_u32_e32 v45, v6, v7                                  // 000000006064: 685A0F06
	v_readlane_b32 s82, v3, 4                                  // 000000006068: D2890052 00010903
	s_lshr_b32 s61, s82, 24                                    // 000000006070: 8F3D9852
	s_and_b32 s82, s82, 0xffffff                               // 000000006074: 8652FF52 00FFFFFF
	s_mul_i32 s82, s82, s71                                    // 00000000607C: 92524752
	s_mul_i32 s61, s60, s61                                    // 000000006080: 923D3D3C
	s_add_u32 s82, s82, s61                                    // 000000006084: 80523D52
	v_mul_lo_u32 v6, v5, s82                                   // 000000006088: D2850006 0000A505
	v_readlane_b32 s82, v3, 5                                  // 000000006090: D2890052 00010B03
	s_lshr_b32 s61, s82, 24                                    // 000000006098: 8F3D9852
	s_and_b32 s82, s82, 0xffffff                               // 00000000609C: 8652FF52 00FFFFFF
	s_mul_i32 s82, s82, s71                                    // 0000000060A4: 92524752
	s_mul_i32 s61, s60, s61                                    // 0000000060A8: 923D3D3C
	s_add_u32 s82, s82, s61                                    // 0000000060AC: 80523D52
	v_mul_lo_u32 v7, v4, s82                                   // 0000000060B0: D2850007 0000A504
	v_add_u32_e32 v46, v6, v7                                  // 0000000060B8: 685C0F06
	v_readlane_b32 s82, v3, 6                                  // 0000000060BC: D2890052 00010D03
	s_lshr_b32 s61, s82, 24                                    // 0000000060C4: 8F3D9852
	s_and_b32 s82, s82, 0xffffff                               // 0000000060C8: 8652FF52 00FFFFFF
	s_mul_i32 s82, s82, s71                                    // 0000000060D0: 92524752
	s_mul_i32 s61, s60, s61                                    // 0000000060D4: 923D3D3C
	s_add_u32 s82, s82, s61                                    // 0000000060D8: 80523D52
	v_mul_lo_u32 v6, v5, s82                                   // 0000000060DC: D2850006 0000A505
	v_readlane_b32 s82, v3, 7                                  // 0000000060E4: D2890052 00010F03
	s_lshr_b32 s61, s82, 24                                    // 0000000060EC: 8F3D9852
	s_and_b32 s82, s82, 0xffffff                               // 0000000060F0: 8652FF52 00FFFFFF
	s_mul_i32 s82, s82, s71                                    // 0000000060F8: 92524752
	s_mul_i32 s61, s60, s61                                    // 0000000060FC: 923D3D3C
	s_add_u32 s82, s82, s61                                    // 000000006100: 80523D52
	v_mul_lo_u32 v7, v4, s82                                   // 000000006104: D2850007 0000A504
	v_add_u32_e32 v47, v6, v7                                  // 00000000610C: 685E0F06
	v_readlane_b32 s82, v3, 8                                  // 000000006110: D2890052 00011103
	s_lshr_b32 s61, s82, 24                                    // 000000006118: 8F3D9852
	s_and_b32 s82, s82, 0xffffff                               // 00000000611C: 8652FF52 00FFFFFF
	s_mul_i32 s82, s82, s71                                    // 000000006124: 92524752
	s_mul_i32 s61, s60, s61                                    // 000000006128: 923D3D3C
	s_add_u32 s82, s82, s61                                    // 00000000612C: 80523D52
	v_mul_lo_u32 v6, v5, s82                                   // 000000006130: D2850006 0000A505
	v_readlane_b32 s82, v3, 9                                  // 000000006138: D2890052 00011303
	s_lshr_b32 s61, s82, 24                                    // 000000006140: 8F3D9852
	s_and_b32 s82, s82, 0xffffff                               // 000000006144: 8652FF52 00FFFFFF
	s_mul_i32 s82, s82, s71                                    // 00000000614C: 92524752
	s_mul_i32 s61, s60, s61                                    // 000000006150: 923D3D3C
	s_add_u32 s82, s82, s61                                    // 000000006154: 80523D52
	v_mul_lo_u32 v7, v4, s82                                   // 000000006158: D2850007 0000A504
	v_add_u32_e32 v48, v6, v7                                  // 000000006160: 68600F06
	v_readlane_b32 s82, v3, 10                                 // 000000006164: D2890052 00011503
	s_lshr_b32 s61, s82, 24                                    // 00000000616C: 8F3D9852
	s_and_b32 s82, s82, 0xffffff                               // 000000006170: 8652FF52 00FFFFFF
	s_mul_i32 s82, s82, s71                                    // 000000006178: 92524752
	s_mul_i32 s61, s60, s61                                    // 00000000617C: 923D3D3C
	s_add_u32 s82, s82, s61                                    // 000000006180: 80523D52
	v_mul_lo_u32 v6, v5, s82                                   // 000000006184: D2850006 0000A505
	v_readlane_b32 s82, v3, 11                                 // 00000000618C: D2890052 00011703
	s_lshr_b32 s61, s82, 24                                    // 000000006194: 8F3D9852
	s_and_b32 s82, s82, 0xffffff                               // 000000006198: 8652FF52 00FFFFFF
	s_mul_i32 s82, s82, s71                                    // 0000000061A0: 92524752
	s_mul_i32 s61, s60, s61                                    // 0000000061A4: 923D3D3C
	s_add_u32 s82, s82, s61                                    // 0000000061A8: 80523D52
	v_mul_lo_u32 v7, v4, s82                                   // 0000000061AC: D2850007 0000A504
	v_add_u32_e32 v49, v6, v7                                  // 0000000061B4: 68620F06
	v_readlane_b32 s82, v3, 12                                 // 0000000061B8: D2890052 00011903
	s_lshr_b32 s61, s82, 24                                    // 0000000061C0: 8F3D9852
	s_and_b32 s82, s82, 0xffffff                               // 0000000061C4: 8652FF52 00FFFFFF
	s_mul_i32 s82, s82, s71                                    // 0000000061CC: 92524752
	s_mul_i32 s61, s60, s61                                    // 0000000061D0: 923D3D3C
	s_add_u32 s82, s82, s61                                    // 0000000061D4: 80523D52
	v_mul_lo_u32 v6, v5, s82                                   // 0000000061D8: D2850006 0000A505
	v_readlane_b32 s82, v3, 13                                 // 0000000061E0: D2890052 00011B03
	s_lshr_b32 s61, s82, 24                                    // 0000000061E8: 8F3D9852
	s_and_b32 s82, s82, 0xffffff                               // 0000000061EC: 8652FF52 00FFFFFF
	s_mul_i32 s82, s82, s71                                    // 0000000061F4: 92524752
	s_mul_i32 s61, s60, s61                                    // 0000000061F8: 923D3D3C
	s_add_u32 s82, s82, s61                                    // 0000000061FC: 80523D52
	v_mul_lo_u32 v7, v4, s82                                   // 000000006200: D2850007 0000A504
	v_add_u32_e32 v50, v6, v7                                  // 000000006208: 68640F06
	v_readlane_b32 s82, v3, 14                                 // 00000000620C: D2890052 00011D03
	s_lshr_b32 s61, s82, 24                                    // 000000006214: 8F3D9852
	s_and_b32 s82, s82, 0xffffff                               // 000000006218: 8652FF52 00FFFFFF
	s_mul_i32 s82, s82, s71                                    // 000000006220: 92524752
	s_mul_i32 s61, s60, s61                                    // 000000006224: 923D3D3C
	s_add_u32 s82, s82, s61                                    // 000000006228: 80523D52
	v_mul_lo_u32 v6, v5, s82                                   // 00000000622C: D2850006 0000A505
	v_readlane_b32 s82, v3, 15                                 // 000000006234: D2890052 00011F03
	s_lshr_b32 s61, s82, 24                                    // 00000000623C: 8F3D9852
	s_and_b32 s82, s82, 0xffffff                               // 000000006240: 8652FF52 00FFFFFF
	s_mul_i32 s82, s82, s71                                    // 000000006248: 92524752
	s_mul_i32 s61, s60, s61                                    // 00000000624C: 923D3D3C
	s_add_u32 s82, s82, s61                                    // 000000006250: 80523D52
	v_mul_lo_u32 v7, v4, s82                                   // 000000006254: D2850007 0000A504
	v_add_u32_e32 v51, v6, v7                                  // 00000000625C: 68660F06
	v_and_b32_e32 v4, 31, v0                                   // 000000006260: 2608009F
	v_lshrrev_b32_e32 v4, 1, v4                                // 000000006264: 20080881
	s_cmp_eq_u32 s88, 0                                        // 000000006268: BF068058
	s_cselect_b32 s61, 2, 4                                    // 00000000626C: 853D8482
	v_mul_lo_u32 v4, v4, s61                                   // 000000006270: D2850004 00007B04
	v_and_b32_e64 v5, v0, 1                                    // 000000006278: D1130005 00010300
	v_add_u32_e32 v4, v4, v5                                   // 000000006280: 68080B04
	v_lshlrev_b32_e32 v4, 2, v4                                // 000000006284: 24080882
	v_add_u32_e32 v44, v44, v4                                 // 000000006288: 6858092C
	v_add_u32_e32 v45, v45, v4                                 // 00000000628C: 685A092D
	v_add_u32_e32 v46, v46, v4                                 // 000000006290: 685C092E
	v_add_u32_e32 v47, v47, v4                                 // 000000006294: 685E092F
	v_add_u32_e32 v48, v48, v4                                 // 000000006298: 68600930
	v_add_u32_e32 v49, v49, v4                                 // 00000000629C: 68620931
	v_add_u32_e32 v50, v50, v4                                 // 0000000062A0: 68640932
	v_add_u32_e32 v51, v51, v4                                 // 0000000062A4: 68660933
	s_waitcnt lgkmcnt(0)                                       // 0000000062A8: BF8CC07F
	s_barrier                                                  // 0000000062AC: BF8A0000
	ds_read_b32 v56, v21                                       // 0000000062B0: D86C0000 38000015
	ds_read_b32 v57, v21 offset:64                             // 0000000062B8: D86C0040 39000015
	ds_read_b32 v58, v21 offset:2176                           // 0000000062C0: D86C0880 3A000015
	ds_read_b32 v59, v21 offset:2240                           // 0000000062C8: D86C08C0 3B000015
	ds_read_b32 v60, v21 offset:4352                           // 0000000062D0: D86C1100 3C000015
	ds_read_b32 v61, v21 offset:4416                           // 0000000062D8: D86C1140 3D000015
	ds_read_b32 v62, v21 offset:6528                           // 0000000062E0: D86C1980 3E000015
	ds_read_b32 v63, v21 offset:6592                           // 0000000062E8: D86C19C0 3F000015
	s_waitcnt lgkmcnt(0)                                       // 0000000062F0: BF8CC07F
	s_mov_b32 s36, -1                                          // 0000000062F4: BEA400C1
	s_mov_b32 s37, -1                                          // 0000000062F8: BEA500C1
	v_mov_b32_e32 v7, 0                                        // 0000000062FC: 7E0E0280
	s_or_b32 s9, s9, 0x40000                                   // 000000006300: 8709FF09 00040000
	s_mov_b64 exec, s[36:37]                                   // 000000006308: BEFE0124
	v_mov_b32_e32 v6, v44                                      // 00000000630C: 7E0C032C
	s_mov_b64 s[60:61], 0                                      // 000000006310: BEBC0180
	v_readlane_b32 s82, v3, 0                                  // 000000006314: D2890052 00010103
	s_and_b32 s82, s82, 0xffffff                               // 00000000631C: 8652FF52 00FFFFFF
	s_cmp_lt_u32 s82, s66                                      // 000000006324: BF0A4252
	s_cselect_b32 s20, s36, s60                                // 000000006328: 85143C24
	v_readlane_b32 s82, v3, 1                                  // 00000000632C: D2890052 00010303
	s_and_b32 s82, s82, 0xffffff                               // 000000006334: 8652FF52 00FFFFFF
	s_cmp_lt_u32 s82, s66                                      // 00000000633C: BF0A4252
	s_cselect_b32 s21, s36, s60                                // 000000006340: 85153C24
	s_mov_b64 exec, s[20:21]                                   // 000000006344: BEFE0114
	buffer_store_dword v56, v6, s[8:11], 0 offen               // 000000006348: E0701000 80023806
	s_mov_b64 exec, s[36:37]                                   // 000000006350: BEFE0124
	v_mov_b32_e32 v6, v45                                      // 000000006354: 7E0C032D
	s_mov_b64 s[60:61], 0                                      // 000000006358: BEBC0180
	v_readlane_b32 s82, v3, 2                                  // 00000000635C: D2890052 00010503
	s_and_b32 s82, s82, 0xffffff                               // 000000006364: 8652FF52 00FFFFFF
	s_cmp_lt_u32 s82, s66                                      // 00000000636C: BF0A4252
	s_cselect_b32 s20, s36, s60                                // 000000006370: 85143C24
	v_readlane_b32 s82, v3, 3                                  // 000000006374: D2890052 00010703
	s_and_b32 s82, s82, 0xffffff                               // 00000000637C: 8652FF52 00FFFFFF
	s_cmp_lt_u32 s82, s66                                      // 000000006384: BF0A4252
	s_cselect_b32 s21, s36, s60                                // 000000006388: 85153C24
	s_mov_b64 exec, s[20:21]                                   // 00000000638C: BEFE0114
	buffer_store_dword v57, v6, s[8:11], 0 offen               // 000000006390: E0701000 80023906
	s_mov_b64 exec, s[36:37]                                   // 000000006398: BEFE0124
	v_mov_b32_e32 v6, v46                                      // 00000000639C: 7E0C032E
	s_mov_b64 s[60:61], 0                                      // 0000000063A0: BEBC0180
	v_readlane_b32 s82, v3, 4                                  // 0000000063A4: D2890052 00010903
	s_and_b32 s82, s82, 0xffffff                               // 0000000063AC: 8652FF52 00FFFFFF
	s_cmp_lt_u32 s82, s66                                      // 0000000063B4: BF0A4252
	s_cselect_b32 s20, s36, s60                                // 0000000063B8: 85143C24
	v_readlane_b32 s82, v3, 5                                  // 0000000063BC: D2890052 00010B03
	s_and_b32 s82, s82, 0xffffff                               // 0000000063C4: 8652FF52 00FFFFFF
	s_cmp_lt_u32 s82, s66                                      // 0000000063CC: BF0A4252
	s_cselect_b32 s21, s36, s60                                // 0000000063D0: 85153C24
	s_mov_b64 exec, s[20:21]                                   // 0000000063D4: BEFE0114
	buffer_store_dword v58, v6, s[8:11], 0 offen               // 0000000063D8: E0701000 80023A06
	s_mov_b64 exec, s[36:37]                                   // 0000000063E0: BEFE0124
	v_mov_b32_e32 v6, v47                                      // 0000000063E4: 7E0C032F
	s_mov_b64 s[60:61], 0                                      // 0000000063E8: BEBC0180
	v_readlane_b32 s82, v3, 6                                  // 0000000063EC: D2890052 00010D03
	s_and_b32 s82, s82, 0xffffff                               // 0000000063F4: 8652FF52 00FFFFFF
	s_cmp_lt_u32 s82, s66                                      // 0000000063FC: BF0A4252
	s_cselect_b32 s20, s36, s60                                // 000000006400: 85143C24
	v_readlane_b32 s82, v3, 7                                  // 000000006404: D2890052 00010F03
	s_and_b32 s82, s82, 0xffffff                               // 00000000640C: 8652FF52 00FFFFFF
	s_cmp_lt_u32 s82, s66                                      // 000000006414: BF0A4252
	s_cselect_b32 s21, s36, s60                                // 000000006418: 85153C24
	s_mov_b64 exec, s[20:21]                                   // 00000000641C: BEFE0114
	buffer_store_dword v59, v6, s[8:11], 0 offen               // 000000006420: E0701000 80023B06
	s_mov_b64 exec, s[36:37]                                   // 000000006428: BEFE0124
	v_mov_b32_e32 v6, v48                                      // 00000000642C: 7E0C0330
	s_mov_b64 s[60:61], 0                                      // 000000006430: BEBC0180
	v_readlane_b32 s82, v3, 8                                  // 000000006434: D2890052 00011103
	s_and_b32 s82, s82, 0xffffff                               // 00000000643C: 8652FF52 00FFFFFF
	s_cmp_lt_u32 s82, s66                                      // 000000006444: BF0A4252
	s_cselect_b32 s20, s36, s60                                // 000000006448: 85143C24
	v_readlane_b32 s82, v3, 9                                  // 00000000644C: D2890052 00011303
	s_and_b32 s82, s82, 0xffffff                               // 000000006454: 8652FF52 00FFFFFF
	s_cmp_lt_u32 s82, s66                                      // 00000000645C: BF0A4252
	s_cselect_b32 s21, s36, s60                                // 000000006460: 85153C24
	s_mov_b64 exec, s[20:21]                                   // 000000006464: BEFE0114
	buffer_store_dword v60, v6, s[8:11], 0 offen               // 000000006468: E0701000 80023C06
	s_mov_b64 exec, s[36:37]                                   // 000000006470: BEFE0124
	v_mov_b32_e32 v6, v49                                      // 000000006474: 7E0C0331
	s_mov_b64 s[60:61], 0                                      // 000000006478: BEBC0180
	v_readlane_b32 s82, v3, 10                                 // 00000000647C: D2890052 00011503
	s_and_b32 s82, s82, 0xffffff                               // 000000006484: 8652FF52 00FFFFFF
	s_cmp_lt_u32 s82, s66                                      // 00000000648C: BF0A4252
	s_cselect_b32 s20, s36, s60                                // 000000006490: 85143C24
	v_readlane_b32 s82, v3, 11                                 // 000000006494: D2890052 00011703
	s_and_b32 s82, s82, 0xffffff                               // 00000000649C: 8652FF52 00FFFFFF
	s_cmp_lt_u32 s82, s66                                      // 0000000064A4: BF0A4252
	s_cselect_b32 s21, s36, s60                                // 0000000064A8: 85153C24
	s_mov_b64 exec, s[20:21]                                   // 0000000064AC: BEFE0114
	buffer_store_dword v61, v6, s[8:11], 0 offen               // 0000000064B0: E0701000 80023D06
	s_mov_b64 exec, s[36:37]                                   // 0000000064B8: BEFE0124
	v_mov_b32_e32 v6, v50                                      // 0000000064BC: 7E0C0332
	s_mov_b64 s[60:61], 0                                      // 0000000064C0: BEBC0180
	v_readlane_b32 s82, v3, 12                                 // 0000000064C4: D2890052 00011903
	s_and_b32 s82, s82, 0xffffff                               // 0000000064CC: 8652FF52 00FFFFFF
	s_cmp_lt_u32 s82, s66                                      // 0000000064D4: BF0A4252
	s_cselect_b32 s20, s36, s60                                // 0000000064D8: 85143C24
	v_readlane_b32 s82, v3, 13                                 // 0000000064DC: D2890052 00011B03
	s_and_b32 s82, s82, 0xffffff                               // 0000000064E4: 8652FF52 00FFFFFF
	s_cmp_lt_u32 s82, s66                                      // 0000000064EC: BF0A4252
	s_cselect_b32 s21, s36, s60                                // 0000000064F0: 85153C24
	s_mov_b64 exec, s[20:21]                                   // 0000000064F4: BEFE0114
	buffer_store_dword v62, v6, s[8:11], 0 offen               // 0000000064F8: E0701000 80023E06
	s_mov_b64 exec, s[36:37]                                   // 000000006500: BEFE0124
	v_mov_b32_e32 v6, v51                                      // 000000006504: 7E0C0333
	s_mov_b64 s[60:61], 0                                      // 000000006508: BEBC0180
	v_readlane_b32 s82, v3, 14                                 // 00000000650C: D2890052 00011D03
	s_and_b32 s82, s82, 0xffffff                               // 000000006514: 8652FF52 00FFFFFF
	s_cmp_lt_u32 s82, s66                                      // 00000000651C: BF0A4252
	s_cselect_b32 s20, s36, s60                                // 000000006520: 85143C24
	v_readlane_b32 s82, v3, 15                                 // 000000006524: D2890052 00011F03
	s_and_b32 s82, s82, 0xffffff                               // 00000000652C: 8652FF52 00FFFFFF
	s_cmp_lt_u32 s82, s66                                      // 000000006534: BF0A4252
	s_cselect_b32 s21, s36, s60                                // 000000006538: 85153C24
	s_mov_b64 exec, s[20:21]                                   // 00000000653C: BEFE0114
	buffer_store_dword v63, v6, s[8:11], 0 offen               // 000000006540: E0701000 80023F06
	s_mov_b64 exec, s[36:37]                                   // 000000006548: BEFE0124
	s_branch label_1251                                        // 00000000654C: BF82037A

0000000000006550 <label_0ED7>:
	ds_write_b64 v20, v[56:57]                                 // 000000006550: D89A0000 00003814
	ds_write_b64 v20, v[60:61] offset:2176                     // 000000006558: D89A0880 00003C14
	ds_write_b64 v20, v[64:65] offset:4352                     // 000000006560: D89A1100 00004014
	ds_write_b64 v20, v[68:69] offset:6528                     // 000000006568: D89A1980 00004414
	v_lshrrev_b32_e32 v4, 5, v0                                // 000000006570: 20080085
	v_xor_b32_e32 v5, 1, v4                                    // 000000006574: 2A0A0881
	s_mul_i32 s60, s65, 2                                      // 000000006578: 923C8241
	s_cmp_eq_u32 s88, 0                                        // 00000000657C: BF068058
	s_cselect_b32 s61, 1, 4                                    // 000000006580: 853D8481
	s_mul_i32 s60, s61, s60                                    // 000000006584: 923C3C3D
	v_readlane_b32 s82, v3, 0                                  // 000000006588: D2890052 00010103
	s_lshr_b32 s61, s82, 24                                    // 000000006590: 8F3D9852
	s_and_b32 s82, s82, 0xffffff                               // 000000006594: 8652FF52 00FFFFFF
	s_mul_i32 s82, s82, s71                                    // 00000000659C: 92524752
	s_mul_i32 s61, s60, s61                                    // 0000000065A0: 923D3D3C
	s_add_u32 s82, s82, s61                                    // 0000000065A4: 80523D52
	v_mul_lo_u32 v6, v5, s82                                   // 0000000065A8: D2850006 0000A505
	v_readlane_b32 s82, v3, 1                                  // 0000000065B0: D2890052 00010303
	s_lshr_b32 s61, s82, 24                                    // 0000000065B8: 8F3D9852
	s_and_b32 s82, s82, 0xffffff                               // 0000000065BC: 8652FF52 00FFFFFF
	s_mul_i32 s82, s82, s71                                    // 0000000065C4: 92524752
	s_mul_i32 s61, s60, s61                                    // 0000000065C8: 923D3D3C
	s_add_u32 s82, s82, s61                                    // 0000000065CC: 80523D52
	v_mul_lo_u32 v7, v4, s82                                   // 0000000065D0: D2850007 0000A504
	v_add_u32_e32 v44, v6, v7                                  // 0000000065D8: 68580F06
	v_readlane_b32 s82, v3, 2                                  // 0000000065DC: D2890052 00010503
	s_lshr_b32 s61, s82, 24                                    // 0000000065E4: 8F3D9852
	s_and_b32 s82, s82, 0xffffff                               // 0000000065E8: 8652FF52 00FFFFFF
	s_mul_i32 s82, s82, s71                                    // 0000000065F0: 92524752
	s_mul_i32 s61, s60, s61                                    // 0000000065F4: 923D3D3C
	s_add_u32 s82, s82, s61                                    // 0000000065F8: 80523D52
	v_mul_lo_u32 v6, v5, s82                                   // 0000000065FC: D2850006 0000A505
	v_readlane_b32 s82, v3, 3                                  // 000000006604: D2890052 00010703
	s_lshr_b32 s61, s82, 24                                    // 00000000660C: 8F3D9852
	s_and_b32 s82, s82, 0xffffff                               // 000000006610: 8652FF52 00FFFFFF
	s_mul_i32 s82, s82, s71                                    // 000000006618: 92524752
	s_mul_i32 s61, s60, s61                                    // 00000000661C: 923D3D3C
	s_add_u32 s82, s82, s61                                    // 000000006620: 80523D52
	v_mul_lo_u32 v7, v4, s82                                   // 000000006624: D2850007 0000A504
	v_add_u32_e32 v45, v6, v7                                  // 00000000662C: 685A0F06
	v_readlane_b32 s82, v3, 4                                  // 000000006630: D2890052 00010903
	s_lshr_b32 s61, s82, 24                                    // 000000006638: 8F3D9852
	s_and_b32 s82, s82, 0xffffff                               // 00000000663C: 8652FF52 00FFFFFF
	s_mul_i32 s82, s82, s71                                    // 000000006644: 92524752
	s_mul_i32 s61, s60, s61                                    // 000000006648: 923D3D3C
	s_add_u32 s82, s82, s61                                    // 00000000664C: 80523D52
	v_mul_lo_u32 v6, v5, s82                                   // 000000006650: D2850006 0000A505
	v_readlane_b32 s82, v3, 5                                  // 000000006658: D2890052 00010B03
	s_lshr_b32 s61, s82, 24                                    // 000000006660: 8F3D9852
	s_and_b32 s82, s82, 0xffffff                               // 000000006664: 8652FF52 00FFFFFF
	s_mul_i32 s82, s82, s71                                    // 00000000666C: 92524752
	s_mul_i32 s61, s60, s61                                    // 000000006670: 923D3D3C
	s_add_u32 s82, s82, s61                                    // 000000006674: 80523D52
	v_mul_lo_u32 v7, v4, s82                                   // 000000006678: D2850007 0000A504
	v_add_u32_e32 v46, v6, v7                                  // 000000006680: 685C0F06
	v_readlane_b32 s82, v3, 6                                  // 000000006684: D2890052 00010D03
	s_lshr_b32 s61, s82, 24                                    // 00000000668C: 8F3D9852
	s_and_b32 s82, s82, 0xffffff                               // 000000006690: 8652FF52 00FFFFFF
	s_mul_i32 s82, s82, s71                                    // 000000006698: 92524752
	s_mul_i32 s61, s60, s61                                    // 00000000669C: 923D3D3C
	s_add_u32 s82, s82, s61                                    // 0000000066A0: 80523D52
	v_mul_lo_u32 v6, v5, s82                                   // 0000000066A4: D2850006 0000A505
	v_readlane_b32 s82, v3, 7                                  // 0000000066AC: D2890052 00010F03
	s_lshr_b32 s61, s82, 24                                    // 0000000066B4: 8F3D9852
	s_and_b32 s82, s82, 0xffffff                               // 0000000066B8: 8652FF52 00FFFFFF
	s_mul_i32 s82, s82, s71                                    // 0000000066C0: 92524752
	s_mul_i32 s61, s60, s61                                    // 0000000066C4: 923D3D3C
	s_add_u32 s82, s82, s61                                    // 0000000066C8: 80523D52
	v_mul_lo_u32 v7, v4, s82                                   // 0000000066CC: D2850007 0000A504
	v_add_u32_e32 v47, v6, v7                                  // 0000000066D4: 685E0F06
	v_readlane_b32 s82, v3, 8                                  // 0000000066D8: D2890052 00011103
	s_lshr_b32 s61, s82, 24                                    // 0000000066E0: 8F3D9852
	s_and_b32 s82, s82, 0xffffff                               // 0000000066E4: 8652FF52 00FFFFFF
	s_mul_i32 s82, s82, s71                                    // 0000000066EC: 92524752
	s_mul_i32 s61, s60, s61                                    // 0000000066F0: 923D3D3C
	s_add_u32 s82, s82, s61                                    // 0000000066F4: 80523D52
	v_mul_lo_u32 v6, v5, s82                                   // 0000000066F8: D2850006 0000A505
	v_readlane_b32 s82, v3, 9                                  // 000000006700: D2890052 00011303
	s_lshr_b32 s61, s82, 24                                    // 000000006708: 8F3D9852
	s_and_b32 s82, s82, 0xffffff                               // 00000000670C: 8652FF52 00FFFFFF
	s_mul_i32 s82, s82, s71                                    // 000000006714: 92524752
	s_mul_i32 s61, s60, s61                                    // 000000006718: 923D3D3C
	s_add_u32 s82, s82, s61                                    // 00000000671C: 80523D52
	v_mul_lo_u32 v7, v4, s82                                   // 000000006720: D2850007 0000A504
	v_add_u32_e32 v48, v6, v7                                  // 000000006728: 68600F06
	v_readlane_b32 s82, v3, 10                                 // 00000000672C: D2890052 00011503
	s_lshr_b32 s61, s82, 24                                    // 000000006734: 8F3D9852
	s_and_b32 s82, s82, 0xffffff                               // 000000006738: 8652FF52 00FFFFFF
	s_mul_i32 s82, s82, s71                                    // 000000006740: 92524752
	s_mul_i32 s61, s60, s61                                    // 000000006744: 923D3D3C
	s_add_u32 s82, s82, s61                                    // 000000006748: 80523D52
	v_mul_lo_u32 v6, v5, s82                                   // 00000000674C: D2850006 0000A505
	v_readlane_b32 s82, v3, 11                                 // 000000006754: D2890052 00011703
	s_lshr_b32 s61, s82, 24                                    // 00000000675C: 8F3D9852
	s_and_b32 s82, s82, 0xffffff                               // 000000006760: 8652FF52 00FFFFFF
	s_mul_i32 s82, s82, s71                                    // 000000006768: 92524752
	s_mul_i32 s61, s60, s61                                    // 00000000676C: 923D3D3C
	s_add_u32 s82, s82, s61                                    // 000000006770: 80523D52
	v_mul_lo_u32 v7, v4, s82                                   // 000000006774: D2850007 0000A504
	v_add_u32_e32 v49, v6, v7                                  // 00000000677C: 68620F06
	v_readlane_b32 s82, v3, 12                                 // 000000006780: D2890052 00011903
	s_lshr_b32 s61, s82, 24                                    // 000000006788: 8F3D9852
	s_and_b32 s82, s82, 0xffffff                               // 00000000678C: 8652FF52 00FFFFFF
	s_mul_i32 s82, s82, s71                                    // 000000006794: 92524752
	s_mul_i32 s61, s60, s61                                    // 000000006798: 923D3D3C
	s_add_u32 s82, s82, s61                                    // 00000000679C: 80523D52
	v_mul_lo_u32 v6, v5, s82                                   // 0000000067A0: D2850006 0000A505
	v_readlane_b32 s82, v3, 13                                 // 0000000067A8: D2890052 00011B03
	s_lshr_b32 s61, s82, 24                                    // 0000000067B0: 8F3D9852
	s_and_b32 s82, s82, 0xffffff                               // 0000000067B4: 8652FF52 00FFFFFF
	s_mul_i32 s82, s82, s71                                    // 0000000067BC: 92524752
	s_mul_i32 s61, s60, s61                                    // 0000000067C0: 923D3D3C
	s_add_u32 s82, s82, s61                                    // 0000000067C4: 80523D52
	v_mul_lo_u32 v7, v4, s82                                   // 0000000067C8: D2850007 0000A504
	v_add_u32_e32 v50, v6, v7                                  // 0000000067D0: 68640F06
	v_readlane_b32 s82, v3, 14                                 // 0000000067D4: D2890052 00011D03
	s_lshr_b32 s61, s82, 24                                    // 0000000067DC: 8F3D9852
	s_and_b32 s82, s82, 0xffffff                               // 0000000067E0: 8652FF52 00FFFFFF
	s_mul_i32 s82, s82, s71                                    // 0000000067E8: 92524752
	s_mul_i32 s61, s60, s61                                    // 0000000067EC: 923D3D3C
	s_add_u32 s82, s82, s61                                    // 0000000067F0: 80523D52
	v_mul_lo_u32 v6, v5, s82                                   // 0000000067F4: D2850006 0000A505
	v_readlane_b32 s82, v3, 15                                 // 0000000067FC: D2890052 00011F03
	s_lshr_b32 s61, s82, 24                                    // 000000006804: 8F3D9852
	s_and_b32 s82, s82, 0xffffff                               // 000000006808: 8652FF52 00FFFFFF
	s_mul_i32 s82, s82, s71                                    // 000000006810: 92524752
	s_mul_i32 s61, s60, s61                                    // 000000006814: 923D3D3C
	s_add_u32 s82, s82, s61                                    // 000000006818: 80523D52
	v_mul_lo_u32 v7, v4, s82                                   // 00000000681C: D2850007 0000A504
	v_add_u32_e32 v51, v6, v7                                  // 000000006824: 68660F06
	v_and_b32_e32 v4, 31, v0                                   // 000000006828: 2608009F
	v_lshrrev_b32_e32 v4, 1, v4                                // 00000000682C: 20080881
	s_cmp_eq_u32 s88, 0                                        // 000000006830: BF068058
	s_cselect_b32 s61, 2, 4                                    // 000000006834: 853D8482
	v_mul_lo_u32 v4, v4, s61                                   // 000000006838: D2850004 00007B04
	v_and_b32_e64 v5, v0, 1                                    // 000000006840: D1130005 00010300
	v_add_u32_e32 v4, v4, v5                                   // 000000006848: 68080B04
	v_lshlrev_b32_e32 v4, 2, v4                                // 00000000684C: 24080882
	v_add_u32_e32 v44, v44, v4                                 // 000000006850: 6858092C
	v_add_u32_e32 v45, v45, v4                                 // 000000006854: 685A092D
	v_add_u32_e32 v46, v46, v4                                 // 000000006858: 685C092E
	v_add_u32_e32 v47, v47, v4                                 // 00000000685C: 685E092F
	v_add_u32_e32 v48, v48, v4                                 // 000000006860: 68600930
	v_add_u32_e32 v49, v49, v4                                 // 000000006864: 68620931
	;; [unrolled: 1-line block ×3, first 2 shown]
	v_add_u32_e32 v51, v51, v4                                 // 00000000686C: 68660933
	s_waitcnt lgkmcnt(0)                                       // 000000006870: BF8CC07F
	s_barrier                                                  // 000000006874: BF8A0000
	ds_read_b32 v56, v21                                       // 000000006878: D86C0000 38000015
	ds_read_b32 v57, v21 offset:64                             // 000000006880: D86C0040 39000015
	ds_read_b32 v60, v21 offset:2176                           // 000000006888: D86C0880 3C000015
	ds_read_b32 v61, v21 offset:2240                           // 000000006890: D86C08C0 3D000015
	ds_read_b32 v64, v21 offset:4352                           // 000000006898: D86C1100 40000015
	ds_read_b32 v65, v21 offset:4416                           // 0000000068A0: D86C1140 41000015
	ds_read_b32 v68, v21 offset:6528                           // 0000000068A8: D86C1980 44000015
	ds_read_b32 v69, v21 offset:6592                           // 0000000068B0: D86C19C0 45000015
	s_waitcnt lgkmcnt(0)                                       // 0000000068B8: BF8CC07F
	s_mov_b32 s36, -1                                          // 0000000068BC: BEA400C1
	s_mov_b32 s37, -1                                          // 0000000068C0: BEA500C1
	v_mov_b32_e32 v7, 0                                        // 0000000068C4: 7E0E0280
	s_mov_b64 exec, s[36:37]                                   // 0000000068C8: BEFE0124
	v_mov_b32_e32 v6, v44                                      // 0000000068CC: 7E0C032C
	s_mov_b64 s[60:61], 0                                      // 0000000068D0: BEBC0180
	v_readlane_b32 s82, v3, 0                                  // 0000000068D4: D2890052 00010103
	s_and_b32 s82, s82, 0xffffff                               // 0000000068DC: 8652FF52 00FFFFFF
	s_cmp_lt_u32 s82, s66                                      // 0000000068E4: BF0A4252
	s_cselect_b32 s20, s36, s60                                // 0000000068E8: 85143C24
	v_readlane_b32 s82, v3, 1                                  // 0000000068EC: D2890052 00010303
	s_and_b32 s82, s82, 0xffffff                               // 0000000068F4: 8652FF52 00FFFFFF
	s_cmp_lt_u32 s82, s66                                      // 0000000068FC: BF0A4252
	s_cselect_b32 s21, s36, s60                                // 000000006900: 85153C24
	s_mov_b64 exec, s[20:21]                                   // 000000006904: BEFE0114
	global_atomic_add_f32 v6, v56, s[8:9]                      // 000000006908: DD348000 00083806
	s_mov_b64 exec, s[36:37]                                   // 000000006910: BEFE0124
	v_mov_b32_e32 v6, v45                                      // 000000006914: 7E0C032D
	s_mov_b64 s[60:61], 0                                      // 000000006918: BEBC0180
	v_readlane_b32 s82, v3, 2                                  // 00000000691C: D2890052 00010503
	s_and_b32 s82, s82, 0xffffff                               // 000000006924: 8652FF52 00FFFFFF
	s_cmp_lt_u32 s82, s66                                      // 00000000692C: BF0A4252
	s_cselect_b32 s20, s36, s60                                // 000000006930: 85143C24
	v_readlane_b32 s82, v3, 3                                  // 000000006934: D2890052 00010703
	s_and_b32 s82, s82, 0xffffff                               // 00000000693C: 8652FF52 00FFFFFF
	s_cmp_lt_u32 s82, s66                                      // 000000006944: BF0A4252
	s_cselect_b32 s21, s36, s60                                // 000000006948: 85153C24
	s_mov_b64 exec, s[20:21]                                   // 00000000694C: BEFE0114
	global_atomic_add_f32 v6, v57, s[8:9]                      // 000000006950: DD348000 00083906
	s_mov_b64 exec, s[36:37]                                   // 000000006958: BEFE0124
	v_mov_b32_e32 v6, v46                                      // 00000000695C: 7E0C032E
	s_mov_b64 s[60:61], 0                                      // 000000006960: BEBC0180
	v_readlane_b32 s82, v3, 4                                  // 000000006964: D2890052 00010903
	s_and_b32 s82, s82, 0xffffff                               // 00000000696C: 8652FF52 00FFFFFF
	s_cmp_lt_u32 s82, s66                                      // 000000006974: BF0A4252
	s_cselect_b32 s20, s36, s60                                // 000000006978: 85143C24
	v_readlane_b32 s82, v3, 5                                  // 00000000697C: D2890052 00010B03
	s_and_b32 s82, s82, 0xffffff                               // 000000006984: 8652FF52 00FFFFFF
	s_cmp_lt_u32 s82, s66                                      // 00000000698C: BF0A4252
	s_cselect_b32 s21, s36, s60                                // 000000006990: 85153C24
	s_mov_b64 exec, s[20:21]                                   // 000000006994: BEFE0114
	global_atomic_add_f32 v6, v60, s[8:9]                      // 000000006998: DD348000 00083C06
	s_mov_b64 exec, s[36:37]                                   // 0000000069A0: BEFE0124
	v_mov_b32_e32 v6, v47                                      // 0000000069A4: 7E0C032F
	s_mov_b64 s[60:61], 0                                      // 0000000069A8: BEBC0180
	v_readlane_b32 s82, v3, 6                                  // 0000000069AC: D2890052 00010D03
	s_and_b32 s82, s82, 0xffffff                               // 0000000069B4: 8652FF52 00FFFFFF
	s_cmp_lt_u32 s82, s66                                      // 0000000069BC: BF0A4252
	s_cselect_b32 s20, s36, s60                                // 0000000069C0: 85143C24
	v_readlane_b32 s82, v3, 7                                  // 0000000069C4: D2890052 00010F03
	s_and_b32 s82, s82, 0xffffff                               // 0000000069CC: 8652FF52 00FFFFFF
	s_cmp_lt_u32 s82, s66                                      // 0000000069D4: BF0A4252
	s_cselect_b32 s21, s36, s60                                // 0000000069D8: 85153C24
	s_mov_b64 exec, s[20:21]                                   // 0000000069DC: BEFE0114
	global_atomic_add_f32 v6, v61, s[8:9]                      // 0000000069E0: DD348000 00083D06
	s_mov_b64 exec, s[36:37]                                   // 0000000069E8: BEFE0124
	v_mov_b32_e32 v6, v48                                      // 0000000069EC: 7E0C0330
	s_mov_b64 s[60:61], 0                                      // 0000000069F0: BEBC0180
	v_readlane_b32 s82, v3, 8                                  // 0000000069F4: D2890052 00011103
	s_and_b32 s82, s82, 0xffffff                               // 0000000069FC: 8652FF52 00FFFFFF
	s_cmp_lt_u32 s82, s66                                      // 000000006A04: BF0A4252
	s_cselect_b32 s20, s36, s60                                // 000000006A08: 85143C24
	v_readlane_b32 s82, v3, 9                                  // 000000006A0C: D2890052 00011303
	s_and_b32 s82, s82, 0xffffff                               // 000000006A14: 8652FF52 00FFFFFF
	s_cmp_lt_u32 s82, s66                                      // 000000006A1C: BF0A4252
	s_cselect_b32 s21, s36, s60                                // 000000006A20: 85153C24
	s_mov_b64 exec, s[20:21]                                   // 000000006A24: BEFE0114
	global_atomic_add_f32 v6, v64, s[8:9]                      // 000000006A28: DD348000 00084006
	s_mov_b64 exec, s[36:37]                                   // 000000006A30: BEFE0124
	v_mov_b32_e32 v6, v49                                      // 000000006A34: 7E0C0331
	s_mov_b64 s[60:61], 0                                      // 000000006A38: BEBC0180
	v_readlane_b32 s82, v3, 10                                 // 000000006A3C: D2890052 00011503
	s_and_b32 s82, s82, 0xffffff                               // 000000006A44: 8652FF52 00FFFFFF
	s_cmp_lt_u32 s82, s66                                      // 000000006A4C: BF0A4252
	s_cselect_b32 s20, s36, s60                                // 000000006A50: 85143C24
	v_readlane_b32 s82, v3, 11                                 // 000000006A54: D2890052 00011703
	s_and_b32 s82, s82, 0xffffff                               // 000000006A5C: 8652FF52 00FFFFFF
	s_cmp_lt_u32 s82, s66                                      // 000000006A64: BF0A4252
	s_cselect_b32 s21, s36, s60                                // 000000006A68: 85153C24
	s_mov_b64 exec, s[20:21]                                   // 000000006A6C: BEFE0114
	global_atomic_add_f32 v6, v65, s[8:9]                      // 000000006A70: DD348000 00084106
	s_mov_b64 exec, s[36:37]                                   // 000000006A78: BEFE0124
	v_mov_b32_e32 v6, v50                                      // 000000006A7C: 7E0C0332
	s_mov_b64 s[60:61], 0                                      // 000000006A80: BEBC0180
	v_readlane_b32 s82, v3, 12                                 // 000000006A84: D2890052 00011903
	s_and_b32 s82, s82, 0xffffff                               // 000000006A8C: 8652FF52 00FFFFFF
	s_cmp_lt_u32 s82, s66                                      // 000000006A94: BF0A4252
	s_cselect_b32 s20, s36, s60                                // 000000006A98: 85143C24
	v_readlane_b32 s82, v3, 13                                 // 000000006A9C: D2890052 00011B03
	s_and_b32 s82, s82, 0xffffff                               // 000000006AA4: 8652FF52 00FFFFFF
	s_cmp_lt_u32 s82, s66                                      // 000000006AAC: BF0A4252
	s_cselect_b32 s21, s36, s60                                // 000000006AB0: 85153C24
	s_mov_b64 exec, s[20:21]                                   // 000000006AB4: BEFE0114
	global_atomic_add_f32 v6, v68, s[8:9]                      // 000000006AB8: DD348000 00084406
	s_mov_b64 exec, s[36:37]                                   // 000000006AC0: BEFE0124
	v_mov_b32_e32 v6, v51                                      // 000000006AC4: 7E0C0333
	s_mov_b64 s[60:61], 0                                      // 000000006AC8: BEBC0180
	v_readlane_b32 s82, v3, 14                                 // 000000006ACC: D2890052 00011D03
	s_and_b32 s82, s82, 0xffffff                               // 000000006AD4: 8652FF52 00FFFFFF
	s_cmp_lt_u32 s82, s66                                      // 000000006ADC: BF0A4252
	s_cselect_b32 s20, s36, s60                                // 000000006AE0: 85143C24
	v_readlane_b32 s82, v3, 15                                 // 000000006AE4: D2890052 00011F03
	s_and_b32 s82, s82, 0xffffff                               // 000000006AEC: 8652FF52 00FFFFFF
	s_cmp_lt_u32 s82, s66                                      // 000000006AF4: BF0A4252
	s_cselect_b32 s21, s36, s60                                // 000000006AF8: 85153C24
	s_mov_b64 exec, s[20:21]                                   // 000000006AFC: BEFE0114
	global_atomic_add_f32 v6, v69, s[8:9]                      // 000000006B00: DD348000 00084506
	s_mov_b64 exec, s[36:37]                                   // 000000006B08: BEFE0124
	ds_write_b64 v20, v[58:59]                                 // 000000006B0C: D89A0000 00003A14
	ds_write_b64 v20, v[62:63] offset:2176                     // 000000006B14: D89A0880 00003E14
	ds_write_b64 v20, v[66:67] offset:4352                     // 000000006B1C: D89A1100 00004214
	ds_write_b64 v20, v[70:71] offset:6528                     // 000000006B24: D89A1980 00004614
	s_waitcnt lgkmcnt(0)                                       // 000000006B2C: BF8CC07F
	s_barrier                                                  // 000000006B30: BF8A0000
	ds_read_b32 v58, v21                                       // 000000006B34: D86C0000 3A000015
	ds_read_b32 v59, v21 offset:64                             // 000000006B3C: D86C0040 3B000015
	ds_read_b32 v62, v21 offset:2176                           // 000000006B44: D86C0880 3E000015
	ds_read_b32 v63, v21 offset:2240                           // 000000006B4C: D86C08C0 3F000015
	ds_read_b32 v66, v21 offset:4352                           // 000000006B54: D86C1100 42000015
	ds_read_b32 v67, v21 offset:4416                           // 000000006B5C: D86C1140 43000015
	ds_read_b32 v70, v21 offset:6528                           // 000000006B64: D86C1980 46000015
	ds_read_b32 v71, v21 offset:6592                           // 000000006B6C: D86C19C0 47000015
	s_waitcnt lgkmcnt(0)                                       // 000000006B74: BF8CC07F
	v_mov_b32_e32 v7, 0                                        // 000000006B78: 7E0E0280
	s_mov_b64 exec, s[36:37]                                   // 000000006B7C: BEFE0124
	v_mov_b32_e32 v6, v44                                      // 000000006B80: 7E0C032C
	s_mov_b64 s[60:61], 0                                      // 000000006B84: BEBC0180
	v_readlane_b32 s82, v3, 0                                  // 000000006B88: D2890052 00010103
	s_and_b32 s82, s82, 0xffffff                               // 000000006B90: 8652FF52 00FFFFFF
	s_cmp_lt_u32 s82, s66                                      // 000000006B98: BF0A4252
	s_cselect_b32 s20, s36, s60                                // 000000006B9C: 85143C24
	v_readlane_b32 s82, v3, 1                                  // 000000006BA0: D2890052 00010303
	s_and_b32 s82, s82, 0xffffff                               // 000000006BA8: 8652FF52 00FFFFFF
	s_cmp_lt_u32 s82, s66                                      // 000000006BB0: BF0A4252
	s_cselect_b32 s21, s36, s60                                // 000000006BB4: 85153C24
	s_mov_b64 exec, s[20:21]                                   // 000000006BB8: BEFE0114
	global_atomic_add_f32 v6, v58, s[8:9] offset:8             // 000000006BBC: DD348008 00083A06
	s_mov_b64 exec, s[36:37]                                   // 000000006BC4: BEFE0124
	v_mov_b32_e32 v6, v45                                      // 000000006BC8: 7E0C032D
	s_mov_b64 s[60:61], 0                                      // 000000006BCC: BEBC0180
	v_readlane_b32 s82, v3, 2                                  // 000000006BD0: D2890052 00010503
	s_and_b32 s82, s82, 0xffffff                               // 000000006BD8: 8652FF52 00FFFFFF
	s_cmp_lt_u32 s82, s66                                      // 000000006BE0: BF0A4252
	s_cselect_b32 s20, s36, s60                                // 000000006BE4: 85143C24
	v_readlane_b32 s82, v3, 3                                  // 000000006BE8: D2890052 00010703
	s_and_b32 s82, s82, 0xffffff                               // 000000006BF0: 8652FF52 00FFFFFF
	s_cmp_lt_u32 s82, s66                                      // 000000006BF8: BF0A4252
	s_cselect_b32 s21, s36, s60                                // 000000006BFC: 85153C24
	s_mov_b64 exec, s[20:21]                                   // 000000006C00: BEFE0114
	global_atomic_add_f32 v6, v59, s[8:9] offset:8             // 000000006C04: DD348008 00083B06
	s_mov_b64 exec, s[36:37]                                   // 000000006C0C: BEFE0124
	v_mov_b32_e32 v6, v46                                      // 000000006C10: 7E0C032E
	s_mov_b64 s[60:61], 0                                      // 000000006C14: BEBC0180
	v_readlane_b32 s82, v3, 4                                  // 000000006C18: D2890052 00010903
	s_and_b32 s82, s82, 0xffffff                               // 000000006C20: 8652FF52 00FFFFFF
	s_cmp_lt_u32 s82, s66                                      // 000000006C28: BF0A4252
	s_cselect_b32 s20, s36, s60                                // 000000006C2C: 85143C24
	v_readlane_b32 s82, v3, 5                                  // 000000006C30: D2890052 00010B03
	s_and_b32 s82, s82, 0xffffff                               // 000000006C38: 8652FF52 00FFFFFF
	s_cmp_lt_u32 s82, s66                                      // 000000006C40: BF0A4252
	s_cselect_b32 s21, s36, s60                                // 000000006C44: 85153C24
	s_mov_b64 exec, s[20:21]                                   // 000000006C48: BEFE0114
	global_atomic_add_f32 v6, v62, s[8:9] offset:8             // 000000006C4C: DD348008 00083E06
	s_mov_b64 exec, s[36:37]                                   // 000000006C54: BEFE0124
	v_mov_b32_e32 v6, v47                                      // 000000006C58: 7E0C032F
	s_mov_b64 s[60:61], 0                                      // 000000006C5C: BEBC0180
	v_readlane_b32 s82, v3, 6                                  // 000000006C60: D2890052 00010D03
	s_and_b32 s82, s82, 0xffffff                               // 000000006C68: 8652FF52 00FFFFFF
	s_cmp_lt_u32 s82, s66                                      // 000000006C70: BF0A4252
	s_cselect_b32 s20, s36, s60                                // 000000006C74: 85143C24
	v_readlane_b32 s82, v3, 7                                  // 000000006C78: D2890052 00010F03
	s_and_b32 s82, s82, 0xffffff                               // 000000006C80: 8652FF52 00FFFFFF
	s_cmp_lt_u32 s82, s66                                      // 000000006C88: BF0A4252
	s_cselect_b32 s21, s36, s60                                // 000000006C8C: 85153C24
	s_mov_b64 exec, s[20:21]                                   // 000000006C90: BEFE0114
	global_atomic_add_f32 v6, v63, s[8:9] offset:8             // 000000006C94: DD348008 00083F06
	s_mov_b64 exec, s[36:37]                                   // 000000006C9C: BEFE0124
	v_mov_b32_e32 v6, v48                                      // 000000006CA0: 7E0C0330
	s_mov_b64 s[60:61], 0                                      // 000000006CA4: BEBC0180
	v_readlane_b32 s82, v3, 8                                  // 000000006CA8: D2890052 00011103
	s_and_b32 s82, s82, 0xffffff                               // 000000006CB0: 8652FF52 00FFFFFF
	s_cmp_lt_u32 s82, s66                                      // 000000006CB8: BF0A4252
	s_cselect_b32 s20, s36, s60                                // 000000006CBC: 85143C24
	v_readlane_b32 s82, v3, 9                                  // 000000006CC0: D2890052 00011303
	s_and_b32 s82, s82, 0xffffff                               // 000000006CC8: 8652FF52 00FFFFFF
	s_cmp_lt_u32 s82, s66                                      // 000000006CD0: BF0A4252
	s_cselect_b32 s21, s36, s60                                // 000000006CD4: 85153C24
	s_mov_b64 exec, s[20:21]                                   // 000000006CD8: BEFE0114
	global_atomic_add_f32 v6, v66, s[8:9] offset:8             // 000000006CDC: DD348008 00084206
	s_mov_b64 exec, s[36:37]                                   // 000000006CE4: BEFE0124
	v_mov_b32_e32 v6, v49                                      // 000000006CE8: 7E0C0331
	s_mov_b64 s[60:61], 0                                      // 000000006CEC: BEBC0180
	v_readlane_b32 s82, v3, 10                                 // 000000006CF0: D2890052 00011503
	s_and_b32 s82, s82, 0xffffff                               // 000000006CF8: 8652FF52 00FFFFFF
	s_cmp_lt_u32 s82, s66                                      // 000000006D00: BF0A4252
	s_cselect_b32 s20, s36, s60                                // 000000006D04: 85143C24
	v_readlane_b32 s82, v3, 11                                 // 000000006D08: D2890052 00011703
	s_and_b32 s82, s82, 0xffffff                               // 000000006D10: 8652FF52 00FFFFFF
	s_cmp_lt_u32 s82, s66                                      // 000000006D18: BF0A4252
	s_cselect_b32 s21, s36, s60                                // 000000006D1C: 85153C24
	s_mov_b64 exec, s[20:21]                                   // 000000006D20: BEFE0114
	global_atomic_add_f32 v6, v67, s[8:9] offset:8             // 000000006D24: DD348008 00084306
	s_mov_b64 exec, s[36:37]                                   // 000000006D2C: BEFE0124
	v_mov_b32_e32 v6, v50                                      // 000000006D30: 7E0C0332
	s_mov_b64 s[60:61], 0                                      // 000000006D34: BEBC0180
	v_readlane_b32 s82, v3, 12                                 // 000000006D38: D2890052 00011903
	s_and_b32 s82, s82, 0xffffff                               // 000000006D40: 8652FF52 00FFFFFF
	s_cmp_lt_u32 s82, s66                                      // 000000006D48: BF0A4252
	s_cselect_b32 s20, s36, s60                                // 000000006D4C: 85143C24
	v_readlane_b32 s82, v3, 13                                 // 000000006D50: D2890052 00011B03
	s_and_b32 s82, s82, 0xffffff                               // 000000006D58: 8652FF52 00FFFFFF
	s_cmp_lt_u32 s82, s66                                      // 000000006D60: BF0A4252
	s_cselect_b32 s21, s36, s60                                // 000000006D64: 85153C24
	s_mov_b64 exec, s[20:21]                                   // 000000006D68: BEFE0114
	global_atomic_add_f32 v6, v70, s[8:9] offset:8             // 000000006D6C: DD348008 00084606
	s_mov_b64 exec, s[36:37]                                   // 000000006D74: BEFE0124
	v_mov_b32_e32 v6, v51                                      // 000000006D78: 7E0C0333
	s_mov_b64 s[60:61], 0                                      // 000000006D7C: BEBC0180
	v_readlane_b32 s82, v3, 14                                 // 000000006D80: D2890052 00011D03
	s_and_b32 s82, s82, 0xffffff                               // 000000006D88: 8652FF52 00FFFFFF
	s_cmp_lt_u32 s82, s66                                      // 000000006D90: BF0A4252
	s_cselect_b32 s20, s36, s60                                // 000000006D94: 85143C24
	v_readlane_b32 s82, v3, 15                                 // 000000006D98: D2890052 00011F03
	s_and_b32 s82, s82, 0xffffff                               // 000000006DA0: 8652FF52 00FFFFFF
	s_cmp_lt_u32 s82, s66                                      // 000000006DA8: BF0A4252
	s_cselect_b32 s21, s36, s60                                // 000000006DAC: 85153C24
	s_mov_b64 exec, s[20:21]                                   // 000000006DB0: BEFE0114
	global_atomic_add_f32 v6, v71, s[8:9] offset:8             // 000000006DB4: DD348008 00084706
	s_mov_b64 exec, s[36:37]                                   // 000000006DBC: BEFE0124
	ds_write_b64 v20, v[72:73]                                 // 000000006DC0: D89A0000 00004814
	ds_write_b64 v20, v[76:77] offset:2176                     // 000000006DC8: D89A0880 00004C14
	ds_write_b64 v20, v[80:81] offset:4352                     // 000000006DD0: D89A1100 00005014
	ds_write_b64 v20, v[84:85] offset:6528                     // 000000006DD8: D89A1980 00005414
	s_waitcnt lgkmcnt(0)                                       // 000000006DE0: BF8CC07F
	s_barrier                                                  // 000000006DE4: BF8A0000
	ds_read_b32 v72, v21                                       // 000000006DE8: D86C0000 48000015
	ds_read_b32 v73, v21 offset:64                             // 000000006DF0: D86C0040 49000015
	ds_read_b32 v76, v21 offset:2176                           // 000000006DF8: D86C0880 4C000015
	ds_read_b32 v77, v21 offset:2240                           // 000000006E00: D86C08C0 4D000015
	ds_read_b32 v80, v21 offset:4352                           // 000000006E08: D86C1100 50000015
	ds_read_b32 v81, v21 offset:4416                           // 000000006E10: D86C1140 51000015
	ds_read_b32 v84, v21 offset:6528                           // 000000006E18: D86C1980 54000015
	ds_read_b32 v85, v21 offset:6592                           // 000000006E20: D86C19C0 55000015
	s_mul_i32 s60, s65, 4                                      // 000000006E28: 923C8441
	s_add_u32 s8, s60, s8                                      // 000000006E2C: 8008083C
	s_addc_u32 s9, 0, s9                                       // 000000006E30: 82090980
	s_waitcnt lgkmcnt(0)                                       // 000000006E34: BF8CC07F
	v_mov_b32_e32 v7, 0                                        // 000000006E38: 7E0E0280
	s_mov_b64 exec, s[36:37]                                   // 000000006E3C: BEFE0124
	v_mov_b32_e32 v6, v44                                      // 000000006E40: 7E0C032C
	s_mov_b64 s[60:61], 0                                      // 000000006E44: BEBC0180
	v_readlane_b32 s82, v3, 0                                  // 000000006E48: D2890052 00010103
	s_and_b32 s82, s82, 0xffffff                               // 000000006E50: 8652FF52 00FFFFFF
	s_cmp_lt_u32 s82, s66                                      // 000000006E58: BF0A4252
	s_cselect_b32 s20, s36, s60                                // 000000006E5C: 85143C24
	v_readlane_b32 s82, v3, 1                                  // 000000006E60: D2890052 00010303
	s_and_b32 s82, s82, 0xffffff                               // 000000006E68: 8652FF52 00FFFFFF
	s_cmp_lt_u32 s82, s66                                      // 000000006E70: BF0A4252
	s_cselect_b32 s21, s36, s60                                // 000000006E74: 85153C24
	s_mov_b64 exec, s[20:21]                                   // 000000006E78: BEFE0114
	global_atomic_add_f32 v6, v72, s[8:9]                      // 000000006E7C: DD348000 00084806
	s_mov_b64 exec, s[36:37]                                   // 000000006E84: BEFE0124
	v_mov_b32_e32 v6, v45                                      // 000000006E88: 7E0C032D
	s_mov_b64 s[60:61], 0                                      // 000000006E8C: BEBC0180
	v_readlane_b32 s82, v3, 2                                  // 000000006E90: D2890052 00010503
	s_and_b32 s82, s82, 0xffffff                               // 000000006E98: 8652FF52 00FFFFFF
	s_cmp_lt_u32 s82, s66                                      // 000000006EA0: BF0A4252
	s_cselect_b32 s20, s36, s60                                // 000000006EA4: 85143C24
	v_readlane_b32 s82, v3, 3                                  // 000000006EA8: D2890052 00010703
	s_and_b32 s82, s82, 0xffffff                               // 000000006EB0: 8652FF52 00FFFFFF
	s_cmp_lt_u32 s82, s66                                      // 000000006EB8: BF0A4252
	s_cselect_b32 s21, s36, s60                                // 000000006EBC: 85153C24
	s_mov_b64 exec, s[20:21]                                   // 000000006EC0: BEFE0114
	global_atomic_add_f32 v6, v73, s[8:9]                      // 000000006EC4: DD348000 00084906
	s_mov_b64 exec, s[36:37]                                   // 000000006ECC: BEFE0124
	v_mov_b32_e32 v6, v46                                      // 000000006ED0: 7E0C032E
	s_mov_b64 s[60:61], 0                                      // 000000006ED4: BEBC0180
	v_readlane_b32 s82, v3, 4                                  // 000000006ED8: D2890052 00010903
	s_and_b32 s82, s82, 0xffffff                               // 000000006EE0: 8652FF52 00FFFFFF
	s_cmp_lt_u32 s82, s66                                      // 000000006EE8: BF0A4252
	s_cselect_b32 s20, s36, s60                                // 000000006EEC: 85143C24
	v_readlane_b32 s82, v3, 5                                  // 000000006EF0: D2890052 00010B03
	s_and_b32 s82, s82, 0xffffff                               // 000000006EF8: 8652FF52 00FFFFFF
	s_cmp_lt_u32 s82, s66                                      // 000000006F00: BF0A4252
	s_cselect_b32 s21, s36, s60                                // 000000006F04: 85153C24
	s_mov_b64 exec, s[20:21]                                   // 000000006F08: BEFE0114
	global_atomic_add_f32 v6, v76, s[8:9]                      // 000000006F0C: DD348000 00084C06
	s_mov_b64 exec, s[36:37]                                   // 000000006F14: BEFE0124
	v_mov_b32_e32 v6, v47                                      // 000000006F18: 7E0C032F
	s_mov_b64 s[60:61], 0                                      // 000000006F1C: BEBC0180
	v_readlane_b32 s82, v3, 6                                  // 000000006F20: D2890052 00010D03
	s_and_b32 s82, s82, 0xffffff                               // 000000006F28: 8652FF52 00FFFFFF
	s_cmp_lt_u32 s82, s66                                      // 000000006F30: BF0A4252
	s_cselect_b32 s20, s36, s60                                // 000000006F34: 85143C24
	v_readlane_b32 s82, v3, 7                                  // 000000006F38: D2890052 00010F03
	s_and_b32 s82, s82, 0xffffff                               // 000000006F40: 8652FF52 00FFFFFF
	s_cmp_lt_u32 s82, s66                                      // 000000006F48: BF0A4252
	s_cselect_b32 s21, s36, s60                                // 000000006F4C: 85153C24
	s_mov_b64 exec, s[20:21]                                   // 000000006F50: BEFE0114
	global_atomic_add_f32 v6, v77, s[8:9]                      // 000000006F54: DD348000 00084D06
	s_mov_b64 exec, s[36:37]                                   // 000000006F5C: BEFE0124
	v_mov_b32_e32 v6, v48                                      // 000000006F60: 7E0C0330
	s_mov_b64 s[60:61], 0                                      // 000000006F64: BEBC0180
	v_readlane_b32 s82, v3, 8                                  // 000000006F68: D2890052 00011103
	s_and_b32 s82, s82, 0xffffff                               // 000000006F70: 8652FF52 00FFFFFF
	s_cmp_lt_u32 s82, s66                                      // 000000006F78: BF0A4252
	s_cselect_b32 s20, s36, s60                                // 000000006F7C: 85143C24
	v_readlane_b32 s82, v3, 9                                  // 000000006F80: D2890052 00011303
	s_and_b32 s82, s82, 0xffffff                               // 000000006F88: 8652FF52 00FFFFFF
	s_cmp_lt_u32 s82, s66                                      // 000000006F90: BF0A4252
	s_cselect_b32 s21, s36, s60                                // 000000006F94: 85153C24
	s_mov_b64 exec, s[20:21]                                   // 000000006F98: BEFE0114
	global_atomic_add_f32 v6, v80, s[8:9]                      // 000000006F9C: DD348000 00085006
	s_mov_b64 exec, s[36:37]                                   // 000000006FA4: BEFE0124
	v_mov_b32_e32 v6, v49                                      // 000000006FA8: 7E0C0331
	s_mov_b64 s[60:61], 0                                      // 000000006FAC: BEBC0180
	v_readlane_b32 s82, v3, 10                                 // 000000006FB0: D2890052 00011503
	s_and_b32 s82, s82, 0xffffff                               // 000000006FB8: 8652FF52 00FFFFFF
	s_cmp_lt_u32 s82, s66                                      // 000000006FC0: BF0A4252
	s_cselect_b32 s20, s36, s60                                // 000000006FC4: 85143C24
	v_readlane_b32 s82, v3, 11                                 // 000000006FC8: D2890052 00011703
	s_and_b32 s82, s82, 0xffffff                               // 000000006FD0: 8652FF52 00FFFFFF
	s_cmp_lt_u32 s82, s66                                      // 000000006FD8: BF0A4252
	s_cselect_b32 s21, s36, s60                                // 000000006FDC: 85153C24
	s_mov_b64 exec, s[20:21]                                   // 000000006FE0: BEFE0114
	global_atomic_add_f32 v6, v81, s[8:9]                      // 000000006FE4: DD348000 00085106
	s_mov_b64 exec, s[36:37]                                   // 000000006FEC: BEFE0124
	v_mov_b32_e32 v6, v50                                      // 000000006FF0: 7E0C0332
	s_mov_b64 s[60:61], 0                                      // 000000006FF4: BEBC0180
	v_readlane_b32 s82, v3, 12                                 // 000000006FF8: D2890052 00011903
	s_and_b32 s82, s82, 0xffffff                               // 000000007000: 8652FF52 00FFFFFF
	s_cmp_lt_u32 s82, s66                                      // 000000007008: BF0A4252
	s_cselect_b32 s20, s36, s60                                // 00000000700C: 85143C24
	v_readlane_b32 s82, v3, 13                                 // 000000007010: D2890052 00011B03
	s_and_b32 s82, s82, 0xffffff                               // 000000007018: 8652FF52 00FFFFFF
	s_cmp_lt_u32 s82, s66                                      // 000000007020: BF0A4252
	s_cselect_b32 s21, s36, s60                                // 000000007024: 85153C24
	s_mov_b64 exec, s[20:21]                                   // 000000007028: BEFE0114
	global_atomic_add_f32 v6, v84, s[8:9]                      // 00000000702C: DD348000 00085406
	s_mov_b64 exec, s[36:37]                                   // 000000007034: BEFE0124
	v_mov_b32_e32 v6, v51                                      // 000000007038: 7E0C0333
	s_mov_b64 s[60:61], 0                                      // 00000000703C: BEBC0180
	v_readlane_b32 s82, v3, 14                                 // 000000007040: D2890052 00011D03
	s_and_b32 s82, s82, 0xffffff                               // 000000007048: 8652FF52 00FFFFFF
	s_cmp_lt_u32 s82, s66                                      // 000000007050: BF0A4252
	s_cselect_b32 s20, s36, s60                                // 000000007054: 85143C24
	v_readlane_b32 s82, v3, 15                                 // 000000007058: D2890052 00011F03
	s_and_b32 s82, s82, 0xffffff                               // 000000007060: 8652FF52 00FFFFFF
	s_cmp_lt_u32 s82, s66                                      // 000000007068: BF0A4252
	s_cselect_b32 s21, s36, s60                                // 00000000706C: 85153C24
	s_mov_b64 exec, s[20:21]                                   // 000000007070: BEFE0114
	global_atomic_add_f32 v6, v85, s[8:9]                      // 000000007074: DD348000 00085506
	s_mov_b64 exec, s[36:37]                                   // 00000000707C: BEFE0124
	ds_write_b64 v20, v[74:75]                                 // 000000007080: D89A0000 00004A14
	ds_write_b64 v20, v[78:79] offset:2176                     // 000000007088: D89A0880 00004E14
	ds_write_b64 v20, v[82:83] offset:4352                     // 000000007090: D89A1100 00005214
	ds_write_b64 v20, v[86:87] offset:6528                     // 000000007098: D89A1980 00005614
	s_waitcnt lgkmcnt(0)                                       // 0000000070A0: BF8CC07F
	s_barrier                                                  // 0000000070A4: BF8A0000
	ds_read_b32 v74, v21                                       // 0000000070A8: D86C0000 4A000015
	ds_read_b32 v75, v21 offset:64                             // 0000000070B0: D86C0040 4B000015
	ds_read_b32 v78, v21 offset:2176                           // 0000000070B8: D86C0880 4E000015
	ds_read_b32 v79, v21 offset:2240                           // 0000000070C0: D86C08C0 4F000015
	ds_read_b32 v82, v21 offset:4352                           // 0000000070C8: D86C1100 52000015
	ds_read_b32 v83, v21 offset:4416                           // 0000000070D0: D86C1140 53000015
	ds_read_b32 v86, v21 offset:6528                           // 0000000070D8: D86C1980 56000015
	ds_read_b32 v87, v21 offset:6592                           // 0000000070E0: D86C19C0 57000015
	s_waitcnt lgkmcnt(0)                                       // 0000000070E8: BF8CC07F
	v_mov_b32_e32 v7, 0                                        // 0000000070EC: 7E0E0280
	s_mov_b64 exec, s[36:37]                                   // 0000000070F0: BEFE0124
	v_mov_b32_e32 v6, v44                                      // 0000000070F4: 7E0C032C
	s_mov_b64 s[60:61], 0                                      // 0000000070F8: BEBC0180
	v_readlane_b32 s82, v3, 0                                  // 0000000070FC: D2890052 00010103
	s_and_b32 s82, s82, 0xffffff                               // 000000007104: 8652FF52 00FFFFFF
	s_cmp_lt_u32 s82, s66                                      // 00000000710C: BF0A4252
	s_cselect_b32 s20, s36, s60                                // 000000007110: 85143C24
	v_readlane_b32 s82, v3, 1                                  // 000000007114: D2890052 00010303
	s_and_b32 s82, s82, 0xffffff                               // 00000000711C: 8652FF52 00FFFFFF
	s_cmp_lt_u32 s82, s66                                      // 000000007124: BF0A4252
	s_cselect_b32 s21, s36, s60                                // 000000007128: 85153C24
	s_mov_b64 exec, s[20:21]                                   // 00000000712C: BEFE0114
	global_atomic_add_f32 v6, v74, s[8:9] offset:8             // 000000007130: DD348008 00084A06
	s_mov_b64 exec, s[36:37]                                   // 000000007138: BEFE0124
	v_mov_b32_e32 v6, v45                                      // 00000000713C: 7E0C032D
	s_mov_b64 s[60:61], 0                                      // 000000007140: BEBC0180
	v_readlane_b32 s82, v3, 2                                  // 000000007144: D2890052 00010503
	s_and_b32 s82, s82, 0xffffff                               // 00000000714C: 8652FF52 00FFFFFF
	s_cmp_lt_u32 s82, s66                                      // 000000007154: BF0A4252
	s_cselect_b32 s20, s36, s60                                // 000000007158: 85143C24
	v_readlane_b32 s82, v3, 3                                  // 00000000715C: D2890052 00010703
	s_and_b32 s82, s82, 0xffffff                               // 000000007164: 8652FF52 00FFFFFF
	s_cmp_lt_u32 s82, s66                                      // 00000000716C: BF0A4252
	s_cselect_b32 s21, s36, s60                                // 000000007170: 85153C24
	s_mov_b64 exec, s[20:21]                                   // 000000007174: BEFE0114
	global_atomic_add_f32 v6, v75, s[8:9] offset:8             // 000000007178: DD348008 00084B06
	s_mov_b64 exec, s[36:37]                                   // 000000007180: BEFE0124
	v_mov_b32_e32 v6, v46                                      // 000000007184: 7E0C032E
	s_mov_b64 s[60:61], 0                                      // 000000007188: BEBC0180
	v_readlane_b32 s82, v3, 4                                  // 00000000718C: D2890052 00010903
	s_and_b32 s82, s82, 0xffffff                               // 000000007194: 8652FF52 00FFFFFF
	s_cmp_lt_u32 s82, s66                                      // 00000000719C: BF0A4252
	s_cselect_b32 s20, s36, s60                                // 0000000071A0: 85143C24
	v_readlane_b32 s82, v3, 5                                  // 0000000071A4: D2890052 00010B03
	s_and_b32 s82, s82, 0xffffff                               // 0000000071AC: 8652FF52 00FFFFFF
	s_cmp_lt_u32 s82, s66                                      // 0000000071B4: BF0A4252
	s_cselect_b32 s21, s36, s60                                // 0000000071B8: 85153C24
	s_mov_b64 exec, s[20:21]                                   // 0000000071BC: BEFE0114
	global_atomic_add_f32 v6, v78, s[8:9] offset:8             // 0000000071C0: DD348008 00084E06
	s_mov_b64 exec, s[36:37]                                   // 0000000071C8: BEFE0124
	v_mov_b32_e32 v6, v47                                      // 0000000071CC: 7E0C032F
	s_mov_b64 s[60:61], 0                                      // 0000000071D0: BEBC0180
	v_readlane_b32 s82, v3, 6                                  // 0000000071D4: D2890052 00010D03
	s_and_b32 s82, s82, 0xffffff                               // 0000000071DC: 8652FF52 00FFFFFF
	s_cmp_lt_u32 s82, s66                                      // 0000000071E4: BF0A4252
	s_cselect_b32 s20, s36, s60                                // 0000000071E8: 85143C24
	v_readlane_b32 s82, v3, 7                                  // 0000000071EC: D2890052 00010F03
	s_and_b32 s82, s82, 0xffffff                               // 0000000071F4: 8652FF52 00FFFFFF
	s_cmp_lt_u32 s82, s66                                      // 0000000071FC: BF0A4252
	s_cselect_b32 s21, s36, s60                                // 000000007200: 85153C24
	s_mov_b64 exec, s[20:21]                                   // 000000007204: BEFE0114
	global_atomic_add_f32 v6, v79, s[8:9] offset:8             // 000000007208: DD348008 00084F06
	s_mov_b64 exec, s[36:37]                                   // 000000007210: BEFE0124
	v_mov_b32_e32 v6, v48                                      // 000000007214: 7E0C0330
	s_mov_b64 s[60:61], 0                                      // 000000007218: BEBC0180
	v_readlane_b32 s82, v3, 8                                  // 00000000721C: D2890052 00011103
	s_and_b32 s82, s82, 0xffffff                               // 000000007224: 8652FF52 00FFFFFF
	s_cmp_lt_u32 s82, s66                                      // 00000000722C: BF0A4252
	s_cselect_b32 s20, s36, s60                                // 000000007230: 85143C24
	v_readlane_b32 s82, v3, 9                                  // 000000007234: D2890052 00011303
	s_and_b32 s82, s82, 0xffffff                               // 00000000723C: 8652FF52 00FFFFFF
	s_cmp_lt_u32 s82, s66                                      // 000000007244: BF0A4252
	s_cselect_b32 s21, s36, s60                                // 000000007248: 85153C24
	s_mov_b64 exec, s[20:21]                                   // 00000000724C: BEFE0114
	global_atomic_add_f32 v6, v82, s[8:9] offset:8             // 000000007250: DD348008 00085206
	s_mov_b64 exec, s[36:37]                                   // 000000007258: BEFE0124
	v_mov_b32_e32 v6, v49                                      // 00000000725C: 7E0C0331
	s_mov_b64 s[60:61], 0                                      // 000000007260: BEBC0180
	v_readlane_b32 s82, v3, 10                                 // 000000007264: D2890052 00011503
	s_and_b32 s82, s82, 0xffffff                               // 00000000726C: 8652FF52 00FFFFFF
	s_cmp_lt_u32 s82, s66                                      // 000000007274: BF0A4252
	s_cselect_b32 s20, s36, s60                                // 000000007278: 85143C24
	v_readlane_b32 s82, v3, 11                                 // 00000000727C: D2890052 00011703
	s_and_b32 s82, s82, 0xffffff                               // 000000007284: 8652FF52 00FFFFFF
	s_cmp_lt_u32 s82, s66                                      // 00000000728C: BF0A4252
	s_cselect_b32 s21, s36, s60                                // 000000007290: 85153C24
	s_mov_b64 exec, s[20:21]                                   // 000000007294: BEFE0114
	global_atomic_add_f32 v6, v83, s[8:9] offset:8             // 000000007298: DD348008 00085306
	s_mov_b64 exec, s[36:37]                                   // 0000000072A0: BEFE0124
	v_mov_b32_e32 v6, v50                                      // 0000000072A4: 7E0C0332
	s_mov_b64 s[60:61], 0                                      // 0000000072A8: BEBC0180
	v_readlane_b32 s82, v3, 12                                 // 0000000072AC: D2890052 00011903
	s_and_b32 s82, s82, 0xffffff                               // 0000000072B4: 8652FF52 00FFFFFF
	s_cmp_lt_u32 s82, s66                                      // 0000000072BC: BF0A4252
	s_cselect_b32 s20, s36, s60                                // 0000000072C0: 85143C24
	v_readlane_b32 s82, v3, 13                                 // 0000000072C4: D2890052 00011B03
	s_and_b32 s82, s82, 0xffffff                               // 0000000072CC: 8652FF52 00FFFFFF
	s_cmp_lt_u32 s82, s66                                      // 0000000072D4: BF0A4252
	s_cselect_b32 s21, s36, s60                                // 0000000072D8: 85153C24
	s_mov_b64 exec, s[20:21]                                   // 0000000072DC: BEFE0114
	global_atomic_add_f32 v6, v86, s[8:9] offset:8             // 0000000072E0: DD348008 00085606
	s_mov_b64 exec, s[36:37]                                   // 0000000072E8: BEFE0124
	v_mov_b32_e32 v6, v51                                      // 0000000072EC: 7E0C0333
	s_mov_b64 s[60:61], 0                                      // 0000000072F0: BEBC0180
	v_readlane_b32 s82, v3, 14                                 // 0000000072F4: D2890052 00011D03
	s_and_b32 s82, s82, 0xffffff                               // 0000000072FC: 8652FF52 00FFFFFF
	s_cmp_lt_u32 s82, s66                                      // 000000007304: BF0A4252
	s_cselect_b32 s20, s36, s60                                // 000000007308: 85143C24
	v_readlane_b32 s82, v3, 15                                 // 00000000730C: D2890052 00011F03
	s_and_b32 s82, s82, 0xffffff                               // 000000007314: 8652FF52 00FFFFFF
	s_cmp_lt_u32 s82, s66                                      // 00000000731C: BF0A4252
	s_cselect_b32 s21, s36, s60                                // 000000007320: 85153C24
	s_mov_b64 exec, s[20:21]                                   // 000000007324: BEFE0114
	global_atomic_add_f32 v6, v87, s[8:9] offset:8             // 000000007328: DD348008 00085706
	s_mov_b64 exec, s[36:37]                                   // 000000007330: BEFE0124
	s_branch label_1251                                        // 000000007334: BF820000

0000000000007338 <label_1251>:
	s_waitcnt vmcnt(0) expcnt(0) lgkmcnt(0)                    // 000000007338: BF8C0000
	s_endpgm                                                   // 00000000733C: BF810000
